;; amdgpu-corpus repo=ROCm/rocFFT kind=compiled arch=gfx1201 opt=O3
	.text
	.amdgcn_target "amdgcn-amd-amdhsa--gfx1201"
	.amdhsa_code_object_version 6
	.protected	fft_rtc_back_len924_factors_2_2_3_7_11_wgs_44_tpt_44_halfLds_dp_ip_CI_sbrr_dirReg ; -- Begin function fft_rtc_back_len924_factors_2_2_3_7_11_wgs_44_tpt_44_halfLds_dp_ip_CI_sbrr_dirReg
	.globl	fft_rtc_back_len924_factors_2_2_3_7_11_wgs_44_tpt_44_halfLds_dp_ip_CI_sbrr_dirReg
	.p2align	8
	.type	fft_rtc_back_len924_factors_2_2_3_7_11_wgs_44_tpt_44_halfLds_dp_ip_CI_sbrr_dirReg,@function
fft_rtc_back_len924_factors_2_2_3_7_11_wgs_44_tpt_44_halfLds_dp_ip_CI_sbrr_dirReg: ; @fft_rtc_back_len924_factors_2_2_3_7_11_wgs_44_tpt_44_halfLds_dp_ip_CI_sbrr_dirReg
; %bb.0:
	s_clause 0x2
	s_load_b64 s[12:13], s[0:1], 0x18
	s_load_b128 s[4:7], s[0:1], 0x0
	s_load_b64 s[10:11], s[0:1], 0x50
	v_mul_u32_u24_e32 v1, 0x5d2, v0
	v_mov_b32_e32 v3, 0
	s_delay_alu instid0(VALU_DEP_2) | instskip(NEXT) | instid1(VALU_DEP_1)
	v_lshrrev_b32_e32 v1, 16, v1
	v_add_nc_u32_e32 v5, ttmp9, v1
	v_mov_b32_e32 v1, 0
	v_mov_b32_e32 v2, 0
	;; [unrolled: 1-line block ×3, first 2 shown]
	s_wait_kmcnt 0x0
	s_load_b64 s[8:9], s[12:13], 0x0
	v_cmp_lt_u64_e64 s2, s[6:7], 2
	s_delay_alu instid0(VALU_DEP_1)
	s_and_b32 vcc_lo, exec_lo, s2
	s_cbranch_vccnz .LBB0_8
; %bb.1:
	s_load_b64 s[2:3], s[0:1], 0x10
	v_mov_b32_e32 v1, 0
	v_mov_b32_e32 v2, 0
	s_add_nc_u64 s[14:15], s[12:13], 8
	s_mov_b64 s[16:17], 1
	s_wait_kmcnt 0x0
	s_add_nc_u64 s[18:19], s[2:3], 8
	s_mov_b32 s3, 0
.LBB0_2:                                ; =>This Inner Loop Header: Depth=1
	s_load_b64 s[20:21], s[18:19], 0x0
                                        ; implicit-def: $vgpr7_vgpr8
	s_mov_b32 s2, exec_lo
	s_wait_kmcnt 0x0
	v_or_b32_e32 v4, s21, v6
	s_delay_alu instid0(VALU_DEP_1)
	v_cmpx_ne_u64_e32 0, v[3:4]
	s_wait_alu 0xfffe
	s_xor_b32 s22, exec_lo, s2
	s_cbranch_execz .LBB0_4
; %bb.3:                                ;   in Loop: Header=BB0_2 Depth=1
	s_cvt_f32_u32 s2, s20
	s_cvt_f32_u32 s23, s21
	s_sub_nc_u64 s[26:27], 0, s[20:21]
	s_wait_alu 0xfffe
	s_delay_alu instid0(SALU_CYCLE_1) | instskip(SKIP_1) | instid1(SALU_CYCLE_2)
	s_fmamk_f32 s2, s23, 0x4f800000, s2
	s_wait_alu 0xfffe
	v_s_rcp_f32 s2, s2
	s_delay_alu instid0(TRANS32_DEP_1) | instskip(SKIP_1) | instid1(SALU_CYCLE_2)
	s_mul_f32 s2, s2, 0x5f7ffffc
	s_wait_alu 0xfffe
	s_mul_f32 s23, s2, 0x2f800000
	s_wait_alu 0xfffe
	s_delay_alu instid0(SALU_CYCLE_2) | instskip(SKIP_1) | instid1(SALU_CYCLE_2)
	s_trunc_f32 s23, s23
	s_wait_alu 0xfffe
	s_fmamk_f32 s2, s23, 0xcf800000, s2
	s_cvt_u32_f32 s25, s23
	s_wait_alu 0xfffe
	s_delay_alu instid0(SALU_CYCLE_1) | instskip(SKIP_1) | instid1(SALU_CYCLE_2)
	s_cvt_u32_f32 s24, s2
	s_wait_alu 0xfffe
	s_mul_u64 s[28:29], s[26:27], s[24:25]
	s_wait_alu 0xfffe
	s_mul_hi_u32 s31, s24, s29
	s_mul_i32 s30, s24, s29
	s_mul_hi_u32 s2, s24, s28
	s_mul_i32 s33, s25, s28
	s_wait_alu 0xfffe
	s_add_nc_u64 s[30:31], s[2:3], s[30:31]
	s_mul_hi_u32 s23, s25, s28
	s_mul_hi_u32 s34, s25, s29
	s_add_co_u32 s2, s30, s33
	s_wait_alu 0xfffe
	s_add_co_ci_u32 s2, s31, s23
	s_mul_i32 s28, s25, s29
	s_add_co_ci_u32 s29, s34, 0
	s_wait_alu 0xfffe
	s_add_nc_u64 s[28:29], s[2:3], s[28:29]
	s_wait_alu 0xfffe
	v_add_co_u32 v4, s2, s24, s28
	s_delay_alu instid0(VALU_DEP_1) | instskip(SKIP_1) | instid1(VALU_DEP_1)
	s_cmp_lg_u32 s2, 0
	s_add_co_ci_u32 s25, s25, s29
	v_readfirstlane_b32 s24, v4
	s_wait_alu 0xfffe
	s_delay_alu instid0(VALU_DEP_1)
	s_mul_u64 s[26:27], s[26:27], s[24:25]
	s_wait_alu 0xfffe
	s_mul_hi_u32 s29, s24, s27
	s_mul_i32 s28, s24, s27
	s_mul_hi_u32 s2, s24, s26
	s_mul_i32 s30, s25, s26
	s_wait_alu 0xfffe
	s_add_nc_u64 s[28:29], s[2:3], s[28:29]
	s_mul_hi_u32 s23, s25, s26
	s_mul_hi_u32 s24, s25, s27
	s_wait_alu 0xfffe
	s_add_co_u32 s2, s28, s30
	s_add_co_ci_u32 s2, s29, s23
	s_mul_i32 s26, s25, s27
	s_add_co_ci_u32 s27, s24, 0
	s_wait_alu 0xfffe
	s_add_nc_u64 s[26:27], s[2:3], s[26:27]
	s_wait_alu 0xfffe
	v_add_co_u32 v4, s2, v4, s26
	s_delay_alu instid0(VALU_DEP_1) | instskip(SKIP_1) | instid1(VALU_DEP_1)
	s_cmp_lg_u32 s2, 0
	s_add_co_ci_u32 s2, s25, s27
	v_mul_hi_u32 v13, v5, v4
	s_wait_alu 0xfffe
	v_mad_co_u64_u32 v[7:8], null, v5, s2, 0
	v_mad_co_u64_u32 v[9:10], null, v6, v4, 0
	;; [unrolled: 1-line block ×3, first 2 shown]
	s_delay_alu instid0(VALU_DEP_3) | instskip(SKIP_1) | instid1(VALU_DEP_4)
	v_add_co_u32 v4, vcc_lo, v13, v7
	s_wait_alu 0xfffd
	v_add_co_ci_u32_e32 v7, vcc_lo, 0, v8, vcc_lo
	s_delay_alu instid0(VALU_DEP_2) | instskip(SKIP_1) | instid1(VALU_DEP_2)
	v_add_co_u32 v4, vcc_lo, v4, v9
	s_wait_alu 0xfffd
	v_add_co_ci_u32_e32 v4, vcc_lo, v7, v10, vcc_lo
	s_wait_alu 0xfffd
	v_add_co_ci_u32_e32 v7, vcc_lo, 0, v12, vcc_lo
	s_delay_alu instid0(VALU_DEP_2) | instskip(SKIP_1) | instid1(VALU_DEP_2)
	v_add_co_u32 v4, vcc_lo, v4, v11
	s_wait_alu 0xfffd
	v_add_co_ci_u32_e32 v9, vcc_lo, 0, v7, vcc_lo
	s_delay_alu instid0(VALU_DEP_2) | instskip(SKIP_1) | instid1(VALU_DEP_3)
	v_mul_lo_u32 v10, s21, v4
	v_mad_co_u64_u32 v[7:8], null, s20, v4, 0
	v_mul_lo_u32 v11, s20, v9
	s_delay_alu instid0(VALU_DEP_2) | instskip(NEXT) | instid1(VALU_DEP_2)
	v_sub_co_u32 v7, vcc_lo, v5, v7
	v_add3_u32 v8, v8, v11, v10
	s_delay_alu instid0(VALU_DEP_1) | instskip(SKIP_1) | instid1(VALU_DEP_1)
	v_sub_nc_u32_e32 v10, v6, v8
	s_wait_alu 0xfffd
	v_subrev_co_ci_u32_e64 v10, s2, s21, v10, vcc_lo
	v_add_co_u32 v11, s2, v4, 2
	s_wait_alu 0xf1ff
	v_add_co_ci_u32_e64 v12, s2, 0, v9, s2
	v_sub_co_u32 v13, s2, v7, s20
	v_sub_co_ci_u32_e32 v8, vcc_lo, v6, v8, vcc_lo
	s_wait_alu 0xf1ff
	v_subrev_co_ci_u32_e64 v10, s2, 0, v10, s2
	s_delay_alu instid0(VALU_DEP_3) | instskip(NEXT) | instid1(VALU_DEP_3)
	v_cmp_le_u32_e32 vcc_lo, s20, v13
	v_cmp_eq_u32_e64 s2, s21, v8
	s_wait_alu 0xfffd
	v_cndmask_b32_e64 v13, 0, -1, vcc_lo
	v_cmp_le_u32_e32 vcc_lo, s21, v10
	s_wait_alu 0xfffd
	v_cndmask_b32_e64 v14, 0, -1, vcc_lo
	v_cmp_le_u32_e32 vcc_lo, s20, v7
	;; [unrolled: 3-line block ×3, first 2 shown]
	s_wait_alu 0xfffd
	v_cndmask_b32_e64 v15, 0, -1, vcc_lo
	v_cmp_eq_u32_e32 vcc_lo, s21, v10
	s_wait_alu 0xf1ff
	s_delay_alu instid0(VALU_DEP_2)
	v_cndmask_b32_e64 v7, v15, v7, s2
	s_wait_alu 0xfffd
	v_cndmask_b32_e32 v10, v14, v13, vcc_lo
	v_add_co_u32 v13, vcc_lo, v4, 1
	s_wait_alu 0xfffd
	v_add_co_ci_u32_e32 v14, vcc_lo, 0, v9, vcc_lo
	s_delay_alu instid0(VALU_DEP_3) | instskip(SKIP_2) | instid1(VALU_DEP_3)
	v_cmp_ne_u32_e32 vcc_lo, 0, v10
	s_wait_alu 0xfffd
	v_cndmask_b32_e32 v10, v13, v11, vcc_lo
	v_cndmask_b32_e32 v8, v14, v12, vcc_lo
	v_cmp_ne_u32_e32 vcc_lo, 0, v7
	s_wait_alu 0xfffd
	s_delay_alu instid0(VALU_DEP_2)
	v_dual_cndmask_b32 v7, v4, v10 :: v_dual_cndmask_b32 v8, v9, v8
.LBB0_4:                                ;   in Loop: Header=BB0_2 Depth=1
	s_wait_alu 0xfffe
	s_and_not1_saveexec_b32 s2, s22
	s_cbranch_execz .LBB0_6
; %bb.5:                                ;   in Loop: Header=BB0_2 Depth=1
	v_cvt_f32_u32_e32 v4, s20
	s_sub_co_i32 s22, 0, s20
	s_delay_alu instid0(VALU_DEP_1) | instskip(NEXT) | instid1(TRANS32_DEP_1)
	v_rcp_iflag_f32_e32 v4, v4
	v_mul_f32_e32 v4, 0x4f7ffffe, v4
	s_delay_alu instid0(VALU_DEP_1) | instskip(SKIP_1) | instid1(VALU_DEP_1)
	v_cvt_u32_f32_e32 v4, v4
	s_wait_alu 0xfffe
	v_mul_lo_u32 v7, s22, v4
	s_delay_alu instid0(VALU_DEP_1) | instskip(NEXT) | instid1(VALU_DEP_1)
	v_mul_hi_u32 v7, v4, v7
	v_add_nc_u32_e32 v4, v4, v7
	s_delay_alu instid0(VALU_DEP_1) | instskip(NEXT) | instid1(VALU_DEP_1)
	v_mul_hi_u32 v4, v5, v4
	v_mul_lo_u32 v7, v4, s20
	v_add_nc_u32_e32 v8, 1, v4
	s_delay_alu instid0(VALU_DEP_2) | instskip(NEXT) | instid1(VALU_DEP_1)
	v_sub_nc_u32_e32 v7, v5, v7
	v_subrev_nc_u32_e32 v9, s20, v7
	v_cmp_le_u32_e32 vcc_lo, s20, v7
	s_wait_alu 0xfffd
	s_delay_alu instid0(VALU_DEP_2) | instskip(NEXT) | instid1(VALU_DEP_1)
	v_dual_cndmask_b32 v7, v7, v9 :: v_dual_cndmask_b32 v4, v4, v8
	v_cmp_le_u32_e32 vcc_lo, s20, v7
	s_delay_alu instid0(VALU_DEP_2) | instskip(SKIP_1) | instid1(VALU_DEP_1)
	v_add_nc_u32_e32 v8, 1, v4
	s_wait_alu 0xfffd
	v_dual_cndmask_b32 v7, v4, v8 :: v_dual_mov_b32 v8, v3
.LBB0_6:                                ;   in Loop: Header=BB0_2 Depth=1
	s_wait_alu 0xfffe
	s_or_b32 exec_lo, exec_lo, s2
	s_load_b64 s[22:23], s[14:15], 0x0
	s_delay_alu instid0(VALU_DEP_1)
	v_mul_lo_u32 v4, v8, s20
	v_mul_lo_u32 v11, v7, s21
	v_mad_co_u64_u32 v[9:10], null, v7, s20, 0
	s_add_nc_u64 s[16:17], s[16:17], 1
	s_add_nc_u64 s[14:15], s[14:15], 8
	s_wait_alu 0xfffe
	v_cmp_ge_u64_e64 s2, s[16:17], s[6:7]
	s_add_nc_u64 s[18:19], s[18:19], 8
	s_delay_alu instid0(VALU_DEP_2) | instskip(NEXT) | instid1(VALU_DEP_3)
	v_add3_u32 v4, v10, v11, v4
	v_sub_co_u32 v5, vcc_lo, v5, v9
	s_wait_alu 0xfffd
	s_delay_alu instid0(VALU_DEP_2) | instskip(SKIP_3) | instid1(VALU_DEP_2)
	v_sub_co_ci_u32_e32 v4, vcc_lo, v6, v4, vcc_lo
	s_and_b32 vcc_lo, exec_lo, s2
	s_wait_kmcnt 0x0
	v_mul_lo_u32 v6, s23, v5
	v_mul_lo_u32 v4, s22, v4
	v_mad_co_u64_u32 v[1:2], null, s22, v5, v[1:2]
	s_delay_alu instid0(VALU_DEP_1)
	v_add3_u32 v2, v6, v2, v4
	s_wait_alu 0xfffe
	s_cbranch_vccnz .LBB0_9
; %bb.7:                                ;   in Loop: Header=BB0_2 Depth=1
	v_dual_mov_b32 v5, v7 :: v_dual_mov_b32 v6, v8
	s_branch .LBB0_2
.LBB0_8:
	v_dual_mov_b32 v8, v6 :: v_dual_mov_b32 v7, v5
.LBB0_9:
	s_lshl_b64 s[2:3], s[6:7], 3
	v_mul_hi_u32 v3, 0x5d1745e, v0
	s_wait_alu 0xfffe
	s_add_nc_u64 s[2:3], s[12:13], s[2:3]
	s_load_b64 s[0:1], s[0:1], 0x20
	s_load_b64 s[2:3], s[2:3], 0x0
                                        ; implicit-def: $vgpr127
	s_delay_alu instid0(VALU_DEP_1) | instskip(NEXT) | instid1(VALU_DEP_1)
	v_mul_u32_u24_e32 v3, 44, v3
	v_sub_nc_u32_e32 v126, v0, v3
	s_delay_alu instid0(VALU_DEP_1)
	v_add_nc_u32_e32 v114, 0x58, v126
	v_add_nc_u32_e32 v118, 0x84, v126
	;; [unrolled: 1-line block ×4, first 2 shown]
	s_wait_kmcnt 0x0
	v_cmp_gt_u64_e32 vcc_lo, s[0:1], v[7:8]
	v_mul_lo_u32 v3, s2, v8
	v_mul_lo_u32 v4, s3, v7
	v_mad_co_u64_u32 v[0:1], null, s2, v7, v[1:2]
	v_cmp_le_u64_e64 s0, s[0:1], v[7:8]
	v_add_nc_u32_e32 v115, 0x108, v126
	v_add_nc_u32_e32 v123, 0x134, v126
	;; [unrolled: 1-line block ×4, first 2 shown]
	v_add3_u32 v1, v4, v1, v3
	s_and_saveexec_b32 s1, s0
	s_wait_alu 0xfffe
	s_xor_b32 s0, exec_lo, s1
; %bb.10:
	v_add_nc_u32_e32 v127, 44, v126
	v_add_nc_u32_e32 v114, 0x58, v126
	;; [unrolled: 1-line block ×9, first 2 shown]
; %bb.11:
	s_wait_alu 0xfffe
	s_or_saveexec_b32 s1, s0
	v_lshlrev_b64_e32 v[112:113], 4, v[0:1]
                                        ; implicit-def: $vgpr86_vgpr87
                                        ; implicit-def: $vgpr82_vgpr83
                                        ; implicit-def: $vgpr74_vgpr75
                                        ; implicit-def: $vgpr66_vgpr67
                                        ; implicit-def: $vgpr70_vgpr71
                                        ; implicit-def: $vgpr58_vgpr59
                                        ; implicit-def: $vgpr78_vgpr79
                                        ; implicit-def: $vgpr62_vgpr63
                                        ; implicit-def: $vgpr50_vgpr51
                                        ; implicit-def: $vgpr46_vgpr47
                                        ; implicit-def: $vgpr54_vgpr55
                                        ; implicit-def: $vgpr42_vgpr43
                                        ; implicit-def: $vgpr38_vgpr39
                                        ; implicit-def: $vgpr34_vgpr35
                                        ; implicit-def: $vgpr26_vgpr27
                                        ; implicit-def: $vgpr18_vgpr19
                                        ; implicit-def: $vgpr30_vgpr31
                                        ; implicit-def: $vgpr22_vgpr23
                                        ; implicit-def: $vgpr14_vgpr15
                                        ; implicit-def: $vgpr6_vgpr7
                                        ; implicit-def: $vgpr10_vgpr11
                                        ; implicit-def: $vgpr2_vgpr3
	s_wait_alu 0xfffe
	s_xor_b32 exec_lo, exec_lo, s1
	s_cbranch_execz .LBB0_15
; %bb.12:
	v_add_nc_u32_e32 v7, 0x1ce, v126
	v_mad_co_u64_u32 v[0:1], null, s8, v126, 0
	v_add_co_u32 v82, s0, s10, v112
	s_delay_alu instid0(VALU_DEP_3) | instskip(SKIP_4) | instid1(VALU_DEP_4)
	v_mad_co_u64_u32 v[2:3], null, s8, v7, 0
	s_wait_alu 0xf1ff
	v_add_co_ci_u32_e64 v83, s0, s11, v113, s0
	v_mad_co_u64_u32 v[16:17], null, s8, v114, 0
	v_mad_co_u64_u32 v[20:21], null, s8, v118, 0
	;; [unrolled: 1-line block ×3, first 2 shown]
	v_dual_mov_b32 v1, v3 :: v_dual_add_nc_u32 v10, 0x1fa, v126
	v_add_nc_u32_e32 v27, 0x252, v126
	v_mad_co_u64_u32 v[32:33], null, s8, v117, 0
	s_delay_alu instid0(VALU_DEP_3) | instskip(NEXT) | instid1(VALU_DEP_4)
	v_mad_co_u64_u32 v[7:8], null, s9, v7, v[1:2]
	v_mad_co_u64_u32 v[12:13], null, s8, v10, 0
	v_add_nc_u32_e32 v127, 44, v126
	v_mov_b32_e32 v1, v4
	v_mad_co_u64_u32 v[40:41], null, s8, v116, 0
	v_mov_b32_e32 v3, v7
	s_delay_alu instid0(VALU_DEP_4) | instskip(SKIP_3) | instid1(VALU_DEP_4)
	v_mad_co_u64_u32 v[5:6], null, s8, v127, 0
	v_mad_co_u64_u32 v[44:45], null, s8, v115, 0
	;; [unrolled: 1-line block ×3, first 2 shown]
	v_add_nc_u32_e32 v51, 0x2d6, v126
	v_dual_mov_b32 v4, v6 :: v_dual_add_nc_u32 v71, 0x35a, v126
	v_mov_b32_e32 v6, v13
	s_mov_b32 s2, exec_lo
                                        ; implicit-def: $vgpr80_vgpr81
                                        ; implicit-def: $vgpr84_vgpr85
	v_add_nc_u32_e32 v28, 0x27e, v126
	v_add_nc_u32_e32 v46, 0x2aa, v126
	v_mad_co_u64_u32 v[7:8], null, s9, v127, v[4:5]
	v_add_nc_u32_e32 v70, 0x32e, v126
	s_delay_alu instid0(VALU_DEP_4) | instskip(NEXT) | instid1(VALU_DEP_4)
	v_mad_co_u64_u32 v[34:35], null, s8, v28, 0
	v_mad_co_u64_u32 v[42:43], null, s8, v46, 0
	s_delay_alu instid0(VALU_DEP_3)
	v_mad_co_u64_u32 v[67:68], null, s8, v70, 0
	v_mad_co_u64_u32 v[13:14], null, s9, v10, v[6:7]
	v_mov_b32_e32 v6, v7
	v_lshlrev_b64_e32 v[0:1], 4, v[0:1]
	v_add_nc_u32_e32 v14, 0x226, v126
	v_lshlrev_b64_e32 v[2:3], 4, v[2:3]
	s_delay_alu instid0(VALU_DEP_4)
	v_lshlrev_b64_e32 v[4:5], 4, v[5:6]
	v_lshlrev_b64_e32 v[12:13], 4, v[12:13]
	v_add_co_u32 v0, s0, v82, v0
	s_wait_alu 0xf1ff
	v_add_co_ci_u32_e64 v1, s0, v83, v1, s0
	v_add_co_u32 v8, s0, v82, v2
	s_wait_alu 0xf1ff
	v_add_co_ci_u32_e64 v9, s0, v83, v3, s0
	s_clause 0x1
	global_load_b128 v[0:3], v[0:1], off
	global_load_b128 v[8:11], v[8:9], off
	v_mad_co_u64_u32 v[18:19], null, s8, v14, 0
	v_mov_b32_e32 v6, v17
	v_add_co_u32 v4, s0, v82, v4
	s_wait_alu 0xf1ff
	v_add_co_ci_u32_e64 v5, s0, v83, v5, s0
	s_delay_alu instid0(VALU_DEP_3)
	v_mad_co_u64_u32 v[6:7], null, s9, v114, v[6:7]
	v_mov_b32_e32 v7, v19
	v_mov_b32_e32 v19, v21
	v_add_co_u32 v12, s0, v82, v12
	s_wait_alu 0xf1ff
	v_add_co_ci_u32_e64 v13, s0, v83, v13, s0
	v_mov_b32_e32 v17, v6
	v_mad_co_u64_u32 v[25:26], null, s9, v118, v[19:20]
	s_delay_alu instid0(VALU_DEP_2) | instskip(NEXT) | instid1(VALU_DEP_2)
	v_lshlrev_b64_e32 v[16:17], 4, v[16:17]
	v_mov_b32_e32 v21, v25
	s_delay_alu instid0(VALU_DEP_2) | instskip(SKIP_1) | instid1(VALU_DEP_3)
	v_add_co_u32 v16, s0, v82, v16
	s_wait_alu 0xf1ff
	v_add_co_ci_u32_e64 v17, s0, v83, v17, s0
	s_delay_alu instid0(VALU_DEP_3)
	v_lshlrev_b64_e32 v[20:21], 4, v[20:21]
	s_wait_loadcnt 0x0
	v_mad_co_u64_u32 v[22:23], null, s9, v14, v[7:8]
	v_mad_co_u64_u32 v[23:24], null, s8, v27, 0
	s_clause 0x1
	global_load_b128 v[4:7], v[4:5], off
	global_load_b128 v[12:15], v[12:13], off
	v_dual_mov_b32 v19, v22 :: v_dual_mov_b32 v22, v24
	s_delay_alu instid0(VALU_DEP_1) | instskip(NEXT) | instid1(VALU_DEP_2)
	v_lshlrev_b64_e32 v[18:19], 4, v[18:19]
	v_mad_co_u64_u32 v[24:25], null, s9, v27, v[22:23]
	v_mov_b32_e32 v22, v33
	s_delay_alu instid0(VALU_DEP_3) | instskip(SKIP_1) | instid1(VALU_DEP_4)
	v_add_co_u32 v18, s0, v82, v18
	s_wait_alu 0xf1ff
	v_add_co_ci_u32_e64 v19, s0, v83, v19, s0
	s_delay_alu instid0(VALU_DEP_4) | instskip(NEXT) | instid1(VALU_DEP_1)
	v_lshlrev_b64_e32 v[23:24], 4, v[23:24]
	v_mad_co_u64_u32 v[25:26], null, s9, v117, v[22:23]
	v_add_co_u32 v26, s0, v82, v20
	v_mov_b32_e32 v20, v35
	s_wait_alu 0xf1ff
	v_add_co_ci_u32_e64 v27, s0, v83, v21, s0
	v_add_co_u32 v35, s0, v82, v23
	s_delay_alu instid0(VALU_DEP_3)
	v_mad_co_u64_u32 v[37:38], null, s9, v28, v[20:21]
	v_mov_b32_e32 v33, v25
	s_wait_alu 0xf1ff
	v_add_co_ci_u32_e64 v36, s0, v83, v24, s0
	s_clause 0x3
	global_load_b128 v[20:23], v[16:17], off
	global_load_b128 v[28:31], v[18:19], off
	;; [unrolled: 1-line block ×4, first 2 shown]
	v_mov_b32_e32 v36, v41
	v_lshlrev_b64_e32 v[32:33], 4, v[32:33]
	v_mov_b32_e32 v35, v37
	s_delay_alu instid0(VALU_DEP_3) | instskip(NEXT) | instid1(VALU_DEP_2)
	v_mad_co_u64_u32 v[36:37], null, s9, v116, v[36:37]
	v_lshlrev_b64_e32 v[34:35], 4, v[34:35]
	s_delay_alu instid0(VALU_DEP_4) | instskip(SKIP_3) | instid1(VALU_DEP_4)
	v_add_co_u32 v32, s0, v82, v32
	s_wait_alu 0xf1ff
	v_add_co_ci_u32_e64 v33, s0, v83, v33, s0
	v_mov_b32_e32 v37, v43
	v_add_co_u32 v38, s0, v82, v34
	v_mov_b32_e32 v43, v45
	v_mov_b32_e32 v41, v36
	s_wait_alu 0xf1ff
	v_add_co_ci_u32_e64 v39, s0, v83, v35, s0
	v_mad_co_u64_u32 v[46:47], null, s9, v46, v[37:38]
	v_mad_co_u64_u32 v[47:48], null, s8, v51, 0
	;; [unrolled: 1-line block ×3, first 2 shown]
	v_lshlrev_b64_e32 v[40:41], 4, v[40:41]
	s_clause 0x1
	global_load_b128 v[32:35], v[32:33], off
	global_load_b128 v[36:39], v[38:39], off
	v_dual_mov_b32 v43, v46 :: v_dual_mov_b32 v46, v48
	v_mov_b32_e32 v45, v49
	s_delay_alu instid0(VALU_DEP_2) | instskip(SKIP_1) | instid1(VALU_DEP_4)
	v_lshlrev_b64_e32 v[42:43], 4, v[42:43]
	v_add_co_u32 v40, s0, v82, v40
	v_mad_co_u64_u32 v[48:49], null, s9, v51, v[46:47]
	v_add_nc_u32_e32 v51, 0x302, v126
	s_wait_alu 0xf1ff
	v_add_co_ci_u32_e64 v41, s0, v83, v41, s0
	v_add_co_u32 v49, s0, v82, v42
	s_delay_alu instid0(VALU_DEP_3)
	v_mad_co_u64_u32 v[58:59], null, s8, v51, 0
	s_wait_alu 0xf1ff
	v_add_co_ci_u32_e64 v50, s0, v83, v43, s0
	v_lshlrev_b64_e32 v[42:43], 4, v[44:45]
	v_lshlrev_b64_e32 v[45:46], 4, v[47:48]
	v_mov_b32_e32 v44, v57
	s_delay_alu instid0(VALU_DEP_3) | instskip(SKIP_1) | instid1(VALU_DEP_3)
	v_add_co_u32 v60, s0, v82, v42
	v_mov_b32_e32 v42, v59
	v_mad_co_u64_u32 v[47:48], null, s9, v123, v[44:45]
	s_wait_alu 0xf1ff
	v_add_co_ci_u32_e64 v61, s0, v83, v43, s0
	v_add_co_u32 v62, s0, v82, v45
	v_mad_co_u64_u32 v[64:65], null, s9, v51, v[42:43]
	v_mad_co_u64_u32 v[65:66], null, s8, v124, 0
	s_wait_alu 0xf1ff
	v_add_co_ci_u32_e64 v63, s0, v83, v46, s0
	v_mov_b32_e32 v57, v47
	s_clause 0x3
	global_load_b128 v[40:43], v[40:41], off
	global_load_b128 v[52:55], v[49:50], off
	;; [unrolled: 1-line block ×4, first 2 shown]
	v_mad_co_u64_u32 v[61:62], null, s8, v125, 0
	v_dual_mov_b32 v60, v66 :: v_dual_mov_b32 v63, v68
	v_mov_b32_e32 v59, v64
	s_delay_alu instid0(VALU_DEP_2) | instskip(NEXT) | instid1(VALU_DEP_3)
	v_mad_co_u64_u32 v[68:69], null, s9, v124, v[60:61]
	v_mad_co_u64_u32 v[63:64], null, s9, v70, v[63:64]
	;; [unrolled: 1-line block ×3, first 2 shown]
	v_mov_b32_e32 v60, v62
	s_delay_alu instid0(VALU_DEP_4) | instskip(NEXT) | instid1(VALU_DEP_4)
	v_mov_b32_e32 v66, v68
	v_mov_b32_e32 v68, v63
	s_delay_alu instid0(VALU_DEP_3) | instskip(SKIP_1) | instid1(VALU_DEP_4)
	v_mad_co_u64_u32 v[62:63], null, s9, v125, v[60:61]
	v_mov_b32_e32 v60, v70
	v_lshlrev_b64_e32 v[63:64], 4, v[65:66]
	v_lshlrev_b64_e32 v[56:57], 4, v[56:57]
	s_delay_alu instid0(VALU_DEP_3) | instskip(SKIP_1) | instid1(VALU_DEP_3)
	v_mad_co_u64_u32 v[65:66], null, s9, v71, v[60:61]
	v_lshlrev_b64_e32 v[66:67], 4, v[67:68]
	v_add_co_u32 v56, s0, v82, v56
	s_wait_alu 0xf1ff
	s_delay_alu instid0(VALU_DEP_4) | instskip(SKIP_3) | instid1(VALU_DEP_1)
	v_add_co_ci_u32_e64 v57, s0, v83, v57, s0
	v_lshlrev_b64_e32 v[60:61], 4, v[61:62]
	v_mov_b32_e32 v70, v65
	v_lshlrev_b64_e32 v[58:59], 4, v[58:59]
	v_add_co_u32 v58, s0, v82, v58
	s_wait_alu 0xf1ff
	s_delay_alu instid0(VALU_DEP_2)
	v_add_co_ci_u32_e64 v59, s0, v83, v59, s0
	v_add_co_u32 v71, s0, v82, v63
	s_wait_alu 0xf1ff
	v_add_co_ci_u32_e64 v72, s0, v83, v64, s0
	v_add_co_u32 v64, s0, v82, v66
	v_lshlrev_b64_e32 v[62:63], 4, v[69:70]
	s_wait_alu 0xf1ff
	v_add_co_ci_u32_e64 v65, s0, v83, v67, s0
	v_add_co_u32 v66, s0, v82, v60
	s_wait_alu 0xf1ff
	v_add_co_ci_u32_e64 v67, s0, v83, v61, s0
	v_add_co_u32 v73, s0, v82, v62
	s_wait_alu 0xf1ff
	v_add_co_ci_u32_e64 v74, s0, v83, v63, s0
	s_clause 0x5
	global_load_b128 v[60:63], v[56:57], off
	global_load_b128 v[76:79], v[58:59], off
	;; [unrolled: 1-line block ×6, first 2 shown]
	v_cmpx_gt_u32_e32 22, v126
	s_cbranch_execz .LBB0_14
; %bb.13:
	v_add_nc_u32_e32 v86, 0x1b8, v126
	s_delay_alu instid0(VALU_DEP_1) | instskip(NEXT) | instid1(VALU_DEP_1)
	v_mad_co_u64_u32 v[80:81], null, s8, v86, 0
	v_mad_co_u64_u32 v[86:87], null, s9, v86, v[81:82]
	s_delay_alu instid0(VALU_DEP_1) | instskip(NEXT) | instid1(VALU_DEP_1)
	v_dual_mov_b32 v81, v86 :: v_dual_add_nc_u32 v88, 0x386, v126
	v_mad_co_u64_u32 v[84:85], null, s8, v88, 0
	s_delay_alu instid0(VALU_DEP_2) | instskip(NEXT) | instid1(VALU_DEP_2)
	v_lshlrev_b64_e32 v[80:81], 4, v[80:81]
	v_mad_co_u64_u32 v[87:88], null, s9, v88, v[85:86]
	s_delay_alu instid0(VALU_DEP_2) | instskip(SKIP_1) | instid1(VALU_DEP_3)
	v_add_co_u32 v80, s0, v82, v80
	s_wait_alu 0xf1ff
	v_add_co_ci_u32_e64 v81, s0, v83, v81, s0
	s_delay_alu instid0(VALU_DEP_3) | instskip(NEXT) | instid1(VALU_DEP_1)
	v_mov_b32_e32 v85, v87
	v_lshlrev_b64_e32 v[84:85], 4, v[84:85]
	s_delay_alu instid0(VALU_DEP_1) | instskip(SKIP_1) | instid1(VALU_DEP_2)
	v_add_co_u32 v84, s0, v82, v84
	s_wait_alu 0xf1ff
	v_add_co_ci_u32_e64 v85, s0, v83, v85, s0
	s_clause 0x1
	global_load_b128 v[80:83], v[80:81], off
	global_load_b128 v[84:87], v[84:85], off
.LBB0_14:
	s_wait_alu 0xfffe
	s_or_b32 exec_lo, exec_lo, s2
.LBB0_15:
	s_delay_alu instid0(SALU_CYCLE_1)
	s_or_b32 exec_lo, exec_lo, s1
	v_add_f64_e64 v[94:95], v[0:1], -v[8:9]
	s_wait_loadcnt 0x0
	v_add_f64_e64 v[90:91], v[80:81], -v[84:85]
	v_add_f64_e64 v[98:99], v[4:5], -v[12:13]
	v_add_f64_e64 v[102:103], v[20:21], -v[28:29]
	v_add_f64_e64 v[106:107], v[16:17], -v[24:25]
	v_add_f64_e64 v[110:111], v[32:33], -v[36:37]
	v_add_f64_e64 v[121:122], v[40:41], -v[52:53]
	v_add_f64_e64 v[130:131], v[44:45], -v[48:49]
	v_add_f64_e64 v[134:135], v[60:61], -v[76:77]
	v_add_f64_e64 v[138:139], v[56:57], -v[68:69]
	v_add_f64_e64 v[142:143], v[64:65], -v[72:73]
	v_add_nc_u32_e32 v72, 0x1b8, v126
	v_lshl_add_u32 v13, v126, 4, 0
	v_lshl_add_u32 v9, v114, 4, 0
	;; [unrolled: 1-line block ×5, first 2 shown]
	v_cmp_gt_u32_e64 s0, 22, v126
	v_fma_f64 v[92:93], v[0:1], 2.0, -v[94:95]
	v_fma_f64 v[88:89], v[80:81], 2.0, -v[90:91]
	;; [unrolled: 1-line block ×11, first 2 shown]
	v_lshl_add_u32 v5, v127, 4, 0
	v_lshl_add_u32 v16, v116, 4, 0
	;; [unrolled: 1-line block ×6, first 2 shown]
	ds_store_b128 v13, v[92:95]
	ds_store_b128 v5, v[96:99]
	ds_store_b128 v9, v[100:103]
	ds_store_b128 v8, v[104:107]
	ds_store_b128 v12, v[108:111]
	ds_store_b128 v16, v[119:122]
	ds_store_b128 v17, v[128:131]
	ds_store_b128 v24, v[132:135]
	ds_store_b128 v21, v[136:139]
	ds_store_b128 v20, v[140:143]
	s_and_saveexec_b32 s1, s0
	s_cbranch_execz .LBB0_17
; %bb.16:
	ds_store_b128 v4, v[88:91]
.LBB0_17:
	s_wait_alu 0xfffe
	s_or_b32 exec_lo, exec_lo, s1
	v_lshl_add_u32 v128, v126, 3, 0
	v_lshlrev_b32_e32 v25, 3, v114
	v_lshlrev_b32_e32 v68, 3, v118
	;; [unrolled: 1-line block ×3, first 2 shown]
	v_lshl_add_u32 v129, v127, 3, 0
	v_add_nc_u32_e32 v0, 0x800, v128
	v_add_nc_u32_e32 v36, 0x1000, v128
	v_lshlrev_b32_e32 v73, 3, v116
	v_sub_nc_u32_e32 v32, v9, v25
	v_lshlrev_b32_e32 v76, 3, v115
	v_sub_nc_u32_e32 v37, v8, v68
	v_lshlrev_b32_e32 v77, 3, v123
	v_lshlrev_b32_e32 v80, 3, v124
	;; [unrolled: 1-line block ×3, first 2 shown]
	global_wb scope:SCOPE_SE
	s_wait_dscnt 0x0
	s_barrier_signal -1
	s_barrier_wait -1
	global_inv scope:SCOPE_SE
	ds_load_2addr_b64 v[96:99], v0 offset0:206 offset1:250
	ds_load_2addr_b64 v[92:95], v36 offset0:38 offset1:82
	ds_load_b64 v[0:1], v128
	ds_load_b64 v[28:29], v129
	ds_load_b64 v[32:33], v32
	ds_load_b64 v[40:41], v37
	v_sub_nc_u32_e32 v37, v12, v69
	v_add_nc_u32_e32 v44, 0x1400, v128
	ds_load_2addr_b64 v[100:103], v36 offset0:126 offset1:170
	v_sub_nc_u32_e32 v36, v16, v73
	v_sub_nc_u32_e32 v52, v17, v76
	;; [unrolled: 1-line block ×4, first 2 shown]
	v_add_nc_u32_e32 v61, 0x1800, v128
	v_sub_nc_u32_e32 v64, v20, v81
	ds_load_2addr_b64 v[104:107], v44 offset0:86 offset1:130
	ds_load_b64 v[44:45], v37
	ds_load_b64 v[48:49], v36
	;; [unrolled: 1-line block ×4, first 2 shown]
	ds_load_2addr_b64 v[108:111], v61 offset0:46 offset1:90
	ds_load_b64 v[60:61], v60
	ds_load_b64 v[64:65], v64
	s_and_saveexec_b32 s1, s0
	s_cbranch_execz .LBB0_19
; %bb.18:
	ds_load_b64 v[88:89], v128 offset:3520
	ds_load_b64 v[90:91], v128 offset:7216
.LBB0_19:
	s_wait_alu 0xfffe
	s_or_b32 exec_lo, exec_lo, s1
	v_add_f64_e64 v[121:122], v[2:3], -v[10:11]
	v_add_f64_e64 v[144:145], v[34:35], -v[38:39]
	;; [unrolled: 1-line block ×11, first 2 shown]
	v_sub_nc_u32_e32 v11, 0, v25
	v_sub_nc_u32_e32 v10, 0, v68
	;; [unrolled: 1-line block ×3, first 2 shown]
	global_wb scope:SCOPE_SE
	s_wait_dscnt 0x0
	s_barrier_signal -1
	s_barrier_wait -1
	global_inv scope:SCOPE_SE
	v_fma_f64 v[119:120], v[2:3], 2.0, -v[121:122]
	v_fma_f64 v[142:143], v[34:35], 2.0, -v[144:145]
	;; [unrolled: 1-line block ×11, first 2 shown]
	v_sub_nc_u32_e32 v18, 0, v73
	v_sub_nc_u32_e32 v19, 0, v76
	v_sub_nc_u32_e32 v22, 0, v77
	v_sub_nc_u32_e32 v3, 0, v80
	v_sub_nc_u32_e32 v2, 0, v81
	ds_store_b128 v13, v[119:122]
	ds_store_b128 v5, v[130:133]
	;; [unrolled: 1-line block ×10, first 2 shown]
	s_and_saveexec_b32 s1, s0
	s_cbranch_execz .LBB0_21
; %bb.20:
	ds_store_b128 v4, v[34:37]
.LBB0_21:
	s_wait_alu 0xfffe
	s_or_b32 exec_lo, exec_lo, s1
	v_add_nc_u32_e32 v4, 0x800, v128
	v_add_nc_u32_e32 v13, 0x1000, v128
	;; [unrolled: 1-line block ×11, first 2 shown]
	global_wb scope:SCOPE_SE
	s_wait_dscnt 0x0
	s_barrier_signal -1
	s_barrier_wait -1
	global_inv scope:SCOPE_SE
	ds_load_2addr_b64 v[4:7], v4 offset0:206 offset1:250
	ds_load_2addr_b64 v[8:11], v13 offset0:38 offset1:82
	ds_load_b64 v[30:31], v128
	ds_load_b64 v[38:39], v129
	;; [unrolled: 1-line block ×4, first 2 shown]
	ds_load_2addr_b64 v[12:15], v13 offset0:126 offset1:170
	ds_load_2addr_b64 v[16:19], v23 offset0:86 offset1:130
	v_add_nc_u32_e32 v120, v20, v2
	ds_load_b64 v[50:51], v74
	ds_load_b64 v[54:55], v75
	;; [unrolled: 1-line block ×4, first 2 shown]
	ds_load_2addr_b64 v[20:23], v21 offset0:46 offset1:90
	ds_load_b64 v[66:67], v3
	ds_load_b64 v[68:69], v120
	v_lshlrev_b32_e32 v70, 1, v126
	v_lshlrev_b32_e32 v71, 1, v127
	;; [unrolled: 1-line block ×10, first 2 shown]
	s_and_saveexec_b32 s1, s0
	s_cbranch_execz .LBB0_23
; %bb.22:
	ds_load_b64 v[34:35], v128 offset:3520
	ds_load_b64 v[36:37], v128 offset:7216
.LBB0_23:
	s_wait_alu 0xfffe
	s_or_b32 exec_lo, exec_lo, s1
	v_and_b32_e32 v77, 1, v126
	s_delay_alu instid0(VALU_DEP_1)
	v_lshlrev_b32_e32 v2, 4, v77
	global_load_b128 v[24:27], v2, s[4:5]
	global_wb scope:SCOPE_SE
	s_wait_loadcnt_dscnt 0x0
	s_barrier_signal -1
	s_barrier_wait -1
	global_inv scope:SCOPE_SE
	v_mul_f64_e32 v[2:3], v[4:5], v[26:27]
	v_mul_f64_e32 v[85:86], v[6:7], v[26:27]
	;; [unrolled: 1-line block ×11, first 2 shown]
	v_fma_f64 v[2:3], v[96:97], v[24:25], v[2:3]
	v_fma_f64 v[85:86], v[98:99], v[24:25], v[85:86]
	v_fma_f64 v[123:124], v[92:93], v[24:25], v[123:124]
	v_fma_f64 v[130:131], v[94:95], v[24:25], v[130:131]
	v_fma_f64 v[132:133], v[100:101], v[24:25], v[132:133]
	v_fma_f64 v[134:135], v[102:103], v[24:25], v[134:135]
	v_fma_f64 v[136:137], v[104:105], v[24:25], v[136:137]
	v_fma_f64 v[138:139], v[106:107], v[24:25], v[138:139]
	v_fma_f64 v[140:141], v[108:109], v[24:25], v[140:141]
	v_fma_f64 v[142:143], v[110:111], v[24:25], v[142:143]
	v_add_f64_e64 v[146:147], v[0:1], -v[2:3]
	v_fma_f64 v[2:3], v[90:91], v[24:25], v[144:145]
	v_add_f64_e64 v[85:86], v[28:29], -v[85:86]
	v_add_f64_e64 v[123:124], v[32:33], -v[123:124]
	;; [unrolled: 1-line block ×9, first 2 shown]
	v_fma_f64 v[0:1], v[0:1], 2.0, -v[146:147]
	v_add_f64_e64 v[2:3], v[88:89], -v[2:3]
	v_fma_f64 v[28:29], v[28:29], 2.0, -v[85:86]
	v_fma_f64 v[144:145], v[32:33], 2.0, -v[123:124]
	;; [unrolled: 1-line block ×9, first 2 shown]
	v_and_or_b32 v33, 0x7c, v70, v77
	v_and_or_b32 v40, 0xfc, v71, v77
	;; [unrolled: 1-line block ×10, first 2 shown]
	v_lshlrev_b32_e32 v32, 1, v72
	v_lshl_add_u32 v33, v33, 3, 0
	v_lshl_add_u32 v40, v40, 3, 0
	;; [unrolled: 1-line block ×10, first 2 shown]
	ds_store_2addr_b64 v33, v[0:1], v[146:147] offset1:2
	ds_store_2addr_b64 v40, v[28:29], v[85:86] offset1:2
	;; [unrolled: 1-line block ×10, first 2 shown]
	s_and_saveexec_b32 s1, s0
	s_cbranch_execz .LBB0_25
; %bb.24:
	v_fma_f64 v[0:1], v[88:89], 2.0, -v[2:3]
	v_and_or_b32 v28, 0x3fc, v32, v77
	s_delay_alu instid0(VALU_DEP_1)
	v_lshl_add_u32 v28, v28, 3, 0
	ds_store_2addr_b64 v28, v[0:1], v[2:3] offset1:2
.LBB0_25:
	s_wait_alu 0xfffe
	s_or_b32 exec_lo, exec_lo, s1
	v_mul_f64_e32 v[0:1], v[96:97], v[26:27]
	v_mul_f64_e32 v[28:29], v[98:99], v[26:27]
	;; [unrolled: 1-line block ×10, first 2 shown]
	global_wb scope:SCOPE_SE
	s_wait_dscnt 0x0
	s_barrier_signal -1
	s_barrier_wait -1
	global_inv scope:SCOPE_SE
	v_add_nc_u32_e32 v130, 0x1000, v128
	v_add_nc_u32_e32 v131, 0x800, v128
	;; [unrolled: 1-line block ×3, first 2 shown]
	v_fma_f64 v[0:1], v[4:5], v[24:25], -v[0:1]
	v_fma_f64 v[4:5], v[6:7], v[24:25], -v[28:29]
	;; [unrolled: 1-line block ×10, first 2 shown]
	v_mul_f64_e32 v[22:23], v[90:91], v[26:27]
	v_add_f64_e64 v[60:61], v[30:31], -v[0:1]
	v_add_f64_e64 v[78:79], v[38:39], -v[4:5]
	;; [unrolled: 1-line block ×10, first 2 shown]
	v_fma_f64 v[0:1], v[36:37], v[24:25], -v[22:23]
	v_fma_f64 v[36:37], v[30:31], 2.0, -v[60:61]
	v_fma_f64 v[38:39], v[38:39], 2.0, -v[78:79]
	;; [unrolled: 1-line block ×10, first 2 shown]
	v_add_f64_e64 v[6:7], v[34:35], -v[0:1]
	ds_load_b64 v[0:1], v128
	ds_load_b64 v[86:87], v76
	;; [unrolled: 1-line block ×8, first 2 shown]
	ds_load_b64 v[88:89], v128 offset:7040
	ds_load_2addr_b64 v[28:31], v130 offset0:104 offset1:148
	ds_load_2addr_b64 v[24:27], v131 offset0:96 offset1:140
	;; [unrolled: 1-line block ×6, first 2 shown]
	global_wb scope:SCOPE_SE
	s_wait_dscnt 0x0
	s_barrier_signal -1
	s_barrier_wait -1
	global_inv scope:SCOPE_SE
	ds_store_2addr_b64 v33, v[36:37], v[60:61] offset1:2
	ds_store_2addr_b64 v40, v[38:39], v[78:79] offset1:2
	ds_store_2addr_b64 v41, v[42:43], v[80:81] offset1:2
	ds_store_2addr_b64 v44, v[46:47], v[82:83] offset1:2
	ds_store_2addr_b64 v45, v[50:51], v[84:85] offset1:2
	ds_store_2addr_b64 v48, v[54:55], v[90:91] offset1:2
	ds_store_2addr_b64 v49, v[57:58], v[92:93] offset1:2
	ds_store_2addr_b64 v52, v[62:63], v[94:95] offset1:2
	ds_store_2addr_b64 v53, v[101:102], v[97:98] offset1:2
	ds_store_2addr_b64 v56, v[103:104], v[99:100] offset1:2
	s_and_saveexec_b32 s1, s0
	s_cbranch_execz .LBB0_27
; %bb.26:
	v_fma_f64 v[33:34], v[34:35], 2.0, -v[6:7]
	v_and_or_b32 v32, 0x3fc, v32, v77
	s_delay_alu instid0(VALU_DEP_1)
	v_lshl_add_u32 v32, v32, 3, 0
	ds_store_2addr_b64 v32, v[33:34], v[6:7] offset1:2
.LBB0_27:
	s_wait_alu 0xfffe
	s_or_b32 exec_lo, exec_lo, s1
	v_and_b32_e32 v99, 3, v126
	global_wb scope:SCOPE_SE
	s_wait_dscnt 0x0
	s_barrier_signal -1
	s_barrier_wait -1
	global_inv scope:SCOPE_SE
	v_lshlrev_b32_e32 v36, 5, v99
	v_lshrrev_b32_e32 v100, 2, v126
	v_lshrrev_b32_e32 v101, 2, v127
	v_lshrrev_b32_e32 v102, 2, v114
	v_lshrrev_b32_e32 v103, 2, v118
	s_clause 0x1
	global_load_b128 v[32:35], v36, s[4:5] offset:48
	global_load_b128 v[36:39], v36, s[4:5] offset:32
	ds_load_2addr_b64 v[56:59], v130 offset0:104 offset1:148
	ds_load_2addr_b64 v[52:55], v131 offset0:96 offset1:140
	;; [unrolled: 1-line block ×3, first 2 shown]
	ds_load_b64 v[80:81], v128
	ds_load_b64 v[92:93], v76
	ds_load_2addr_b64 v[60:63], v131 offset0:184 offset1:228
	ds_load_2addr_b64 v[48:51], v96 offset0:24 offset1:68
	ds_load_2addr_b64 v[44:47], v130 offset0:16 offset1:60
	ds_load_b64 v[82:83], v121
	ds_load_b64 v[78:79], v74
	ds_load_b64 v[76:77], v75
	ds_load_b64 v[74:75], v122
	ds_load_b64 v[84:85], v119
	ds_load_b64 v[90:91], v129
	ds_load_b64 v[94:95], v128 offset:7040
	v_lshrrev_b32_e32 v104, 2, v117
	v_lshrrev_b32_e32 v105, 2, v116
	;; [unrolled: 1-line block ×3, first 2 shown]
	v_and_b32_e32 v107, 0xff, v126
	v_mul_u32_u24_e32 v125, 12, v100
	v_mul_lo_u32 v170, v101, 12
	v_mul_lo_u32 v171, v102, 12
	;; [unrolled: 1-line block ×6, first 2 shown]
	v_mul_lo_u16 v133, 0xab, v107
	v_or_b32_e32 v176, v125, v99
	v_and_b32_e32 v123, 0xff, v127
	v_and_b32_e32 v124, 0xff, v114
	s_mov_b32 s0, 0xe8584caa
	v_lshrrev_b16 v133, 11, v133
	s_mov_b32 s1, 0xbfebb67a
	v_mul_lo_u16 v123, 0xab, v123
	v_mul_lo_u16 v124, 0xab, v124
	s_mov_b32 s3, 0x3febb67a
	s_wait_alu 0xfffe
	s_mov_b32 s2, s0
	v_add_nc_u32_e32 v132, 0xc00, v128
	v_lshrrev_b16 v125, 11, v123
	v_lshrrev_b16 v124, 11, v124
	v_add_nc_u32_e32 v98, 0x1400, v128
	v_add_nc_u32_e32 v97, 0x400, v128
	global_wb scope:SCOPE_SE
	s_wait_loadcnt_dscnt 0x0
	s_barrier_signal -1
	s_barrier_wait -1
	global_inv scope:SCOPE_SE
	s_mov_b32 s12, 0x37e14327
	s_mov_b32 s6, 0x36b3c0b5
	;; [unrolled: 1-line block ×14, first 2 shown]
	s_wait_alu 0xfffe
	s_mov_b32 s20, s16
	s_mov_b32 s22, s24
	;; [unrolled: 1-line block ×4, first 2 shown]
	v_mul_f64_e32 v[100:101], v[56:57], v[34:35]
	v_mul_f64_e32 v[102:103], v[92:93], v[38:39]
	;; [unrolled: 1-line block ×28, first 2 shown]
	v_fma_f64 v[28:29], v[28:29], v[32:33], v[100:101]
	v_fma_f64 v[86:87], v[86:87], v[36:37], v[102:103]
	;; [unrolled: 1-line block ×14, first 2 shown]
	v_fma_f64 v[92:93], v[92:93], v[36:37], -v[146:147]
	v_fma_f64 v[56:57], v[56:57], v[32:33], -v[148:149]
	;; [unrolled: 1-line block ×4, first 2 shown]
	v_or_b32_e32 v103, v170, v99
	v_or_b32_e32 v104, v171, v99
	;; [unrolled: 1-line block ×6, first 2 shown]
	v_fma_f64 v[54:55], v[54:55], v[36:37], -v[154:155]
	v_fma_f64 v[99:100], v[40:41], v[32:33], -v[156:157]
	;; [unrolled: 1-line block ×10, first 2 shown]
	v_mul_lo_u16 v107, v133, 12
	v_mul_lo_u16 v108, v125, 12
	;; [unrolled: 1-line block ×3, first 2 shown]
	v_lshl_add_u32 v118, v103, 3, 0
	v_lshl_add_u32 v123, v104, 3, 0
	v_add_f64_e32 v[34:35], v[86:87], v[28:29]
	v_lshl_add_u32 v160, v105, 3, 0
	v_add_f64_e32 v[38:39], v[24:25], v[30:31]
	v_lshl_add_u32 v161, v106, 3, 0
	v_add_f64_e32 v[45:46], v[26:27], v[20:21]
	v_sub_nc_u16 v40, v126, v107
	v_add_f64_e32 v[94:95], v[16:17], v[22:23]
	v_sub_nc_u16 v41, v127, v108
	v_add_f64_e32 v[103:104], v[18:19], v[12:13]
	;; [unrolled: 2-line block ×3, first 2 shown]
	v_lshl_add_u32 v162, v109, 3, 0
	v_add_f64_e32 v[107:108], v[10:11], v[88:89]
	v_add_f64_e32 v[116:117], v[80:81], v[92:93]
	v_add_f64_e64 v[114:115], v[92:93], -v[56:57]
	v_add_f64_e32 v[92:93], v[92:93], v[56:57]
	v_add_f64_e32 v[136:137], v[52:53], v[58:59]
	v_lshl_add_u32 v163, v110, 3, 0
	v_add_f64_e32 v[109:110], v[0:1], v[86:87]
	v_add_f64_e64 v[86:87], v[86:87], -v[28:29]
	v_add_f64_e32 v[134:135], v[72:73], v[24:25]
	v_add_f64_e64 v[138:139], v[52:53], -v[58:59]
	v_add_f64_e32 v[142:143], v[4:5], v[26:27]
	v_add_f64_e32 v[146:147], v[70:71], v[16:17]
	v_add_f64_e32 v[140:141], v[54:55], v[99:100]
	v_add_f64_e32 v[150:151], v[64:65], v[18:19]
	v_add_f64_e32 v[144:145], v[60:61], v[101:102]
	v_add_f64_e32 v[154:155], v[66:67], v[8:9]
	v_add_f64_e32 v[148:149], v[62:63], v[48:49]
	v_add_f64_e32 v[158:159], v[68:69], v[10:11]
	v_add_f64_e32 v[152:153], v[43:44], v[50:51]
	v_add_f64_e64 v[24:25], v[24:25], -v[30:31]
	v_add_f64_e32 v[156:157], v[36:37], v[32:33]
	v_add_f64_e64 v[26:27], v[26:27], -v[20:21]
	v_add_f64_e64 v[16:17], v[16:17], -v[22:23]
	;; [unrolled: 1-line block ×5, first 2 shown]
	v_fma_f64 v[0:1], v[34:35], -0.5, v[0:1]
	v_add_f64_e32 v[34:35], v[90:91], v[52:53]
	v_fma_f64 v[38:39], v[38:39], -0.5, v[72:73]
	v_add_f64_e64 v[52:53], v[54:55], -v[99:100]
	v_fma_f64 v[4:5], v[45:46], -0.5, v[4:5]
	v_add_f64_e64 v[45:46], v[60:61], -v[101:102]
	;; [unrolled: 2-line block ×5, first 2 shown]
	v_fma_f64 v[68:69], v[107:108], -0.5, v[68:69]
	v_add_f64_e32 v[36:37], v[74:75], v[36:37]
	v_add_f64_e32 v[54:55], v[84:85], v[54:55]
	v_fma_f64 v[80:81], v[92:93], -0.5, v[80:81]
	v_fma_f64 v[90:91], v[136:137], -0.5, v[90:91]
	v_add_f64_e32 v[60:61], v[82:83], v[60:61]
	v_add_f64_e32 v[62:63], v[78:79], v[62:63]
	;; [unrolled: 1-line block ×7, first 2 shown]
	v_fma_f64 v[84:85], v[140:141], -0.5, v[84:85]
	v_add_f64_e32 v[12:13], v[150:151], v[12:13]
	v_fma_f64 v[82:83], v[144:145], -0.5, v[82:83]
	v_add_f64_e32 v[14:15], v[154:155], v[14:15]
	;; [unrolled: 2-line block ×3, first 2 shown]
	v_fma_f64 v[76:77], v[152:153], -0.5, v[76:77]
	v_and_b32_e32 v40, 0xff, v40
	v_fma_f64 v[74:75], v[156:157], -0.5, v[74:75]
	v_lshl_add_u32 v111, v176, 3, 0
	v_and_b32_e32 v41, 0xff, v41
	v_and_b32_e32 v42, 0xff, v42
	v_mul_u32_u24_e32 v47, 6, v40
	v_lshlrev_b32_e32 v40, 3, v40
	v_fma_f64 v[92:93], v[114:115], s[0:1], v[0:1]
	v_fma_f64 v[0:1], v[114:115], s[2:3], v[0:1]
	;; [unrolled: 1-line block ×3, first 2 shown]
	v_add_f64_e32 v[34:35], v[34:35], v[58:59]
	v_fma_f64 v[107:108], v[52:53], s[0:1], v[4:5]
	v_fma_f64 v[4:5], v[52:53], s[2:3], v[4:5]
	;; [unrolled: 1-line block ×10, first 2 shown]
	v_add_f64_e32 v[103:104], v[116:117], v[56:57]
	v_add_f64_e32 v[32:33], v[36:37], v[32:33]
	v_fma_f64 v[36:37], v[86:87], s[2:3], v[80:81]
	v_fma_f64 v[80:81], v[86:87], s[0:1], v[80:81]
	;; [unrolled: 1-line block ×5, first 2 shown]
	v_add_f64_e32 v[99:100], v[54:55], v[99:100]
	v_add_f64_e32 v[101:102], v[60:61], v[101:102]
	;; [unrolled: 1-line block ×3, first 2 shown]
	v_fma_f64 v[90:91], v[26:27], s[2:3], v[84:85]
	v_fma_f64 v[26:27], v[26:27], s[0:1], v[84:85]
	v_fma_f64 v[84:85], v[16:17], s[2:3], v[82:83]
	v_fma_f64 v[82:83], v[16:17], s[0:1], v[82:83]
	v_fma_f64 v[109:110], v[18:19], s[2:3], v[78:79]
	v_fma_f64 v[78:79], v[18:19], s[0:1], v[78:79]
	v_add_f64_e32 v[43:44], v[43:44], v[50:51]
	v_fma_f64 v[114:115], v[8:9], s[2:3], v[76:77]
	v_fma_f64 v[76:77], v[8:9], s[0:1], v[76:77]
	;; [unrolled: 1-line block ×4, first 2 shown]
	v_lshlrev_b32_e32 v150, 4, v47
	v_mul_u32_u24_e32 v164, 6, v41
	v_mul_u32_u24_e32 v134, 6, v42
	ds_store_2addr_b64 v111, v[28:29], v[92:93] offset1:4
	ds_store_b64 v111, v[0:1] offset:64
	ds_store_2addr_b64 v118, v[30:31], v[105:106] offset1:4
	ds_store_b64 v118, v[38:39] offset:64
	ds_store_2addr_b64 v123, v[20:21], v[107:108] offset1:4
	ds_store_b64 v123, v[4:5] offset:64
	ds_store_2addr_b64 v160, v[22:23], v[52:53] offset1:4
	ds_store_b64 v160, v[45:46] offset:64
	ds_store_2addr_b64 v161, v[12:13], v[70:71] offset1:4
	ds_store_b64 v161, v[64:65] offset:64
	ds_store_2addr_b64 v162, v[14:15], v[72:73] offset1:4
	ds_store_b64 v162, v[66:67] offset:64
	ds_store_2addr_b64 v163, v[88:89], v[94:95] offset1:4
	ds_store_b64 v163, v[68:69] offset:64
	global_wb scope:SCOPE_SE
	s_wait_dscnt 0x0
	s_barrier_signal -1
	s_barrier_wait -1
	global_inv scope:SCOPE_SE
	ds_load_2addr_b64 v[8:11], v128 offset1:176
	ds_load_b64 v[0:1], v120
	ds_load_2addr_b64 v[12:15], v132 offset0:100 offset1:144
	ds_load_2addr_b64 v[16:19], v130 offset0:148 offset1:192
	;; [unrolled: 1-line block ×3, first 2 shown]
	ds_load_b64 v[190:191], v129
	ds_load_2addr_b64 v[46:49], v97 offset0:92 offset1:180
	ds_load_2addr_b64 v[50:53], v131 offset0:96 offset1:184
	;; [unrolled: 1-line block ×4, first 2 shown]
	ds_load_b64 v[30:31], v122
	ds_load_b64 v[28:29], v121
	;; [unrolled: 1-line block ×3, first 2 shown]
	global_wb scope:SCOPE_SE
	s_wait_dscnt 0x0
	s_barrier_signal -1
	s_barrier_wait -1
	global_inv scope:SCOPE_SE
	ds_store_2addr_b64 v111, v[103:104], v[36:37] offset1:4
	ds_store_b64 v111, v[80:81] offset:64
	ds_store_2addr_b64 v118, v[34:35], v[86:87] offset1:4
	ds_store_b64 v118, v[24:25] offset:64
	;; [unrolled: 2-line block ×7, first 2 shown]
	global_wb scope:SCOPE_SE
	s_wait_dscnt 0x0
	s_barrier_signal -1
	s_barrier_wait -1
	global_inv scope:SCOPE_SE
	s_clause 0x3
	global_load_b128 v[62:65], v150, s[4:5] offset:160
	global_load_b128 v[72:75], v150, s[4:5] offset:176
	;; [unrolled: 1-line block ×4, first 2 shown]
	v_lshlrev_b32_e32 v158, 4, v164
	v_lshlrev_b32_e32 v4, 4, v134
	s_clause 0xd
	global_load_b128 v[86:89], v158, s[4:5] offset:224
	global_load_b128 v[90:93], v158, s[4:5] offset:160
	;; [unrolled: 1-line block ×14, first 2 shown]
	ds_load_b64 v[76:77], v121
	ds_load_b64 v[110:111], v122
	ds_load_2addr_b64 v[170:173], v98 offset0:108 offset1:152
	ds_load_2addr_b64 v[174:177], v130 offset0:148 offset1:192
	ds_load_2addr_b64 v[24:27], v128 offset1:176
	ds_load_2addr_b64 v[178:181], v96 offset0:68 offset1:112
	ds_load_2addr_b64 v[94:97], v97 offset0:92 offset1:180
	;; [unrolled: 1-line block ×3, first 2 shown]
	ds_load_b64 v[98:99], v120
	ds_load_b64 v[4:5], v119
	ds_load_2addr_b64 v[118:121], v132 offset0:100 offset1:144
	ds_load_2addr_b64 v[186:189], v130 offset0:60 offset1:104
	s_mov_b32 s2, 0x429ad128
	s_mov_b32 s3, 0xbfebfeb5
	v_lshlrev_b32_e32 v41, 3, v41
	v_lshlrev_b32_e32 v42, 3, v42
	v_cmp_gt_u32_e64 s0, 40, v126
	s_wait_loadcnt_dscnt 0xd08
	v_mul_f64_e32 v[43:44], v[176:177], v[88:89]
	s_wait_loadcnt_dscnt 0xc07
	v_mul_f64_e32 v[66:67], v[26:27], v[92:93]
	;; [unrolled: 2-line block ×4, first 2 shown]
	v_mul_f64_e32 v[32:33], v[76:77], v[64:65]
	v_mul_f64_e32 v[34:35], v[110:111], v[74:75]
	;; [unrolled: 1-line block ×4, first 2 shown]
	s_wait_loadcnt 0x9
	v_mul_f64_e32 v[108:109], v[94:95], v[136:137]
	s_wait_loadcnt_dscnt 0x804
	v_mul_f64_e32 v[122:123], v[182:183], v[140:141]
	s_wait_loadcnt 0x7
	v_mul_f64_e32 v[194:195], v[180:181], v[144:145]
	s_wait_loadcnt 0x6
	v_mul_f64_e32 v[196:197], v[170:171], v[148:149]
	v_mul_f64_e32 v[198:199], v[28:29], v[64:65]
	;; [unrolled: 1-line block ×3, first 2 shown]
	s_wait_loadcnt_dscnt 0x503
	v_mul_f64_e32 v[200:201], v[98:99], v[116:117]
	v_mul_f64_e32 v[116:117], v[0:1], v[116:117]
	;; [unrolled: 1-line block ×3, first 2 shown]
	s_wait_loadcnt_dscnt 0x401
	v_mul_f64_e32 v[202:203], v[120:121], v[152:153]
	v_mul_f64_e32 v[152:153], v[14:15], v[152:153]
	;; [unrolled: 1-line block ×6, first 2 shown]
	s_wait_loadcnt 0x3
	v_mul_f64_e32 v[208:209], v[184:185], v[156:157]
	v_mul_f64_e32 v[156:157], v[52:53], v[156:157]
	s_wait_loadcnt_dscnt 0x200
	v_mul_f64_e32 v[210:211], v[186:187], v[160:161]
	v_mul_f64_e32 v[160:161], v[54:55], v[160:161]
	;; [unrolled: 1-line block ×3, first 2 shown]
	s_wait_loadcnt 0x1
	v_mul_f64_e32 v[214:215], v[118:119], v[164:165]
	v_mul_f64_e32 v[136:137], v[46:47], v[136:137]
	;; [unrolled: 1-line block ×4, first 2 shown]
	v_fma_f64 v[28:29], v[28:29], v[62:63], v[32:33]
	v_fma_f64 v[32:33], v[30:31], v[72:73], v[34:35]
	;; [unrolled: 1-line block ×8, first 2 shown]
	v_mul_f64_e32 v[16:17], v[20:21], v[148:149]
	s_wait_loadcnt 0x0
	v_mul_f64_e32 v[22:23], v[188:189], v[168:169]
	v_mul_f64_e32 v[10:11], v[60:61], v[144:145]
	;; [unrolled: 1-line block ×3, first 2 shown]
	v_fma_f64 v[46:47], v[46:47], v[134:135], v[108:109]
	v_fma_f64 v[68:69], v[50:51], v[138:139], v[122:123]
	;; [unrolled: 1-line block ×4, first 2 shown]
	v_fma_f64 v[108:109], v[76:77], v[62:63], -v[198:199]
	v_fma_f64 v[106:107], v[110:111], v[72:73], -v[74:75]
	v_fma_f64 v[72:73], v[0:1], v[114:115], v[200:201]
	v_fma_f64 v[74:75], v[98:99], v[114:115], -v[116:117]
	v_fma_f64 v[110:111], v[174:175], v[82:83], -v[84:85]
	v_fma_f64 v[76:77], v[14:15], v[150:151], v[202:203]
	v_fma_f64 v[80:81], v[120:121], v[150:151], -v[152:153]
	v_fma_f64 v[114:115], v[172:173], v[78:79], -v[204:205]
	;; [unrolled: 1-line block ×5, first 2 shown]
	v_fma_f64 v[26:27], v[52:53], v[154:155], v[208:209]
	v_fma_f64 v[82:83], v[184:185], v[154:155], -v[156:157]
	v_fma_f64 v[78:79], v[54:55], v[158:159], v[210:211]
	v_fma_f64 v[86:87], v[186:187], v[158:159], -v[160:161]
	v_fma_f64 v[104:105], v[178:179], v[104:105], -v[212:213]
	v_fma_f64 v[90:91], v[12:13], v[162:163], v[214:215]
	v_fma_f64 v[96:97], v[94:95], v[134:135], -v[136:137]
	v_fma_f64 v[94:95], v[182:183], v[138:139], -v[140:141]
	;; [unrolled: 1-line block ×3, first 2 shown]
	v_and_b32_e32 v43, 0xffff, v133
	v_add_f64_e32 v[0:1], v[28:29], v[30:31]
	v_add_f64_e32 v[14:15], v[32:33], v[36:37]
	s_delay_alu instid0(VALU_DEP_3)
	v_mul_u32_u24_e32 v43, 0x2a0, v43
	v_add_f64_e32 v[12:13], v[34:35], v[44:45]
	v_add_f64_e32 v[20:21], v[66:67], v[38:39]
	v_fma_f64 v[120:121], v[170:171], v[146:147], -v[16:17]
	v_fma_f64 v[116:117], v[56:57], v[166:167], v[22:23]
	v_fma_f64 v[122:123], v[180:181], v[142:143], -v[10:11]
	v_fma_f64 v[118:119], v[188:189], v[166:167], -v[18:19]
	v_add_f64_e32 v[10:11], v[46:47], v[64:65]
	v_add_f64_e32 v[16:17], v[68:69], v[70:71]
	v_add_f64_e64 v[22:23], v[106:107], -v[110:111]
	v_add_f64_e32 v[18:19], v[72:73], v[76:77]
	v_add_f64_e64 v[48:49], v[80:81], -v[74:75]
	v_add_f64_e64 v[50:51], v[108:109], -v[114:115]
	;; [unrolled: 1-line block ×3, first 2 shown]
	v_add_f64_e32 v[54:55], v[26:27], v[78:79]
	v_add_f64_e64 v[58:59], v[86:87], -v[82:83]
	v_add_f64_e64 v[60:61], v[102:103], -v[104:105]
	v_add_f64_e32 v[52:53], v[14:15], v[0:1]
	v_add_f64_e32 v[62:63], v[20:21], v[12:13]
	v_add_f64_e64 v[84:85], v[94:95], -v[120:121]
	v_add_f64_e32 v[88:89], v[90:91], v[116:117]
	v_add_f64_e64 v[136:137], v[96:97], -v[122:123]
	v_add_f64_e64 v[134:135], v[118:119], -v[92:93]
	v_add_f64_e32 v[138:139], v[16:17], v[10:11]
	v_add_f64_e64 v[140:141], v[0:1], -v[18:19]
	v_add_f64_e64 v[142:143], v[18:19], -v[14:15]
	v_add_f64_e64 v[144:145], v[48:49], -v[22:23]
	v_add_f64_e64 v[146:147], v[22:23], -v[50:51]
	v_add_f64_e32 v[22:23], v[48:49], v[22:23]
	v_add_f64_e64 v[0:1], v[14:15], -v[0:1]
	v_add_f64_e64 v[14:15], v[50:51], -v[48:49]
	;; [unrolled: 1-line block ×5, first 2 shown]
	v_add_f64_e32 v[56:57], v[58:59], v[56:57]
	v_add_f64_e64 v[58:59], v[60:61], -v[58:59]
	v_add_f64_e32 v[18:19], v[18:19], v[52:53]
	v_add_f64_e64 v[52:53], v[12:13], -v[54:55]
	v_add_f64_e64 v[12:13], v[20:21], -v[12:13]
	v_add_f64_e32 v[54:55], v[54:55], v[62:63]
	v_add_f64_e64 v[62:63], v[10:11], -v[88:89]
	v_add_f64_e64 v[156:157], v[84:85], -v[136:137]
	;; [unrolled: 1-line block ×3, first 2 shown]
	v_add_f64_e32 v[84:85], v[134:135], v[84:85]
	v_add_f64_e64 v[134:135], v[136:137], -v[134:135]
	v_add_f64_e64 v[10:11], v[16:17], -v[10:11]
	v_add_f64_e32 v[138:139], v[88:89], v[138:139]
	v_add_f64_e64 v[88:89], v[88:89], -v[16:17]
	v_mul_f64_e32 v[48:49], s[12:13], v[140:141]
	v_mul_f64_e32 v[140:141], s[6:7], v[142:143]
	;; [unrolled: 1-line block ×3, first 2 shown]
	s_wait_alu 0xfffe
	v_mul_f64_e32 v[144:145], s[2:3], v[146:147]
	v_add_f64_e32 v[22:23], v[22:23], v[50:51]
	v_mul_f64_e32 v[160:161], s[6:7], v[148:149]
	v_mul_f64_e32 v[150:151], s[14:15], v[150:151]
	;; [unrolled: 1-line block ×3, first 2 shown]
	v_add_f64_e32 v[50:51], v[56:57], v[60:61]
	v_add_f64_e32 v[158:159], v[8:9], v[18:19]
	v_mul_f64_e32 v[52:53], s[12:13], v[52:53]
	v_add_f64_e32 v[164:165], v[190:191], v[54:55]
	v_mul_f64_e32 v[62:63], s[12:13], v[62:63]
	v_mul_f64_e32 v[166:167], s[2:3], v[156:157]
	;; [unrolled: 1-line block ×3, first 2 shown]
	v_add_f64_e32 v[56:57], v[84:85], v[136:137]
	v_add_f64_e32 v[8:9], v[192:193], v[138:139]
	v_mul_f64_e32 v[16:17], s[6:7], v[88:89]
	v_fma_f64 v[60:61], v[142:143], s[6:7], v[48:49]
	v_fma_f64 v[84:85], v[0:1], s[16:17], -v[140:141]
	v_fma_f64 v[0:1], v[0:1], s[20:21], -v[48:49]
	v_fma_f64 v[48:49], v[14:15], s[24:25], v[20:21]
	v_fma_f64 v[20:21], v[146:147], s[2:3], -v[20:21]
	v_fma_f64 v[14:15], v[14:15], s[22:23], -v[144:145]
	;; [unrolled: 1-line block ×3, first 2 shown]
	v_fma_f64 v[142:143], v[58:59], s[24:25], v[150:151]
	v_fma_f64 v[144:145], v[152:153], s[2:3], -v[150:151]
	v_fma_f64 v[58:59], v[58:59], s[22:23], -v[162:163]
	v_fma_f64 v[18:19], v[18:19], s[18:19], v[158:159]
	v_fma_f64 v[136:137], v[148:149], s[6:7], v[52:53]
	v_fma_f64 v[12:13], v[12:13], s[20:21], -v[52:53]
	v_fma_f64 v[54:55], v[54:55], s[18:19], v[164:165]
	v_fma_f64 v[52:53], v[88:89], s[6:7], v[62:63]
	v_fma_f64 v[62:63], v[10:11], s[20:21], -v[62:63]
	v_fma_f64 v[88:89], v[134:135], s[24:25], v[154:155]
	v_fma_f64 v[146:147], v[156:157], s[2:3], -v[154:155]
	v_fma_f64 v[134:135], v[134:135], s[22:23], -v[166:167]
	v_fma_f64 v[138:139], v[138:139], s[18:19], v[8:9]
	v_fma_f64 v[10:11], v[10:11], s[16:17], -v[16:17]
	v_fma_f64 v[16:17], v[22:23], s[26:27], v[48:49]
	v_fma_f64 v[20:21], v[22:23], s[26:27], v[20:21]
	;; [unrolled: 1-line block ×4, first 2 shown]
	v_add_f64_e32 v[22:23], v[60:61], v[18:19]
	v_add_f64_e32 v[0:1], v[0:1], v[18:19]
	;; [unrolled: 1-line block ×3, first 2 shown]
	v_fma_f64 v[60:61], v[50:51], s[26:27], v[144:145]
	v_fma_f64 v[50:51], v[50:51], s[26:27], v[58:59]
	v_add_f64_e32 v[58:59], v[136:137], v[54:55]
	v_add_f64_e32 v[12:13], v[12:13], v[54:55]
	;; [unrolled: 1-line block ×3, first 2 shown]
	v_fma_f64 v[88:89], v[56:57], s[26:27], v[88:89]
	v_fma_f64 v[136:137], v[56:57], s[26:27], v[146:147]
	;; [unrolled: 1-line block ×3, first 2 shown]
	v_add_f64_e32 v[52:53], v[52:53], v[138:139]
	v_add_f64_e32 v[62:63], v[62:63], v[138:139]
	;; [unrolled: 1-line block ×5, first 2 shown]
	v_add_f64_e64 v[142:143], v[18:19], -v[20:21]
	v_add_f64_e32 v[144:145], v[20:21], v[18:19]
	v_add_f64_e64 v[146:147], v[0:1], -v[14:15]
	v_add_f64_e64 v[148:149], v[22:23], -v[16:17]
	v_add_f64_e32 v[150:151], v[48:49], v[58:59]
	v_add_f64_e32 v[152:153], v[50:51], v[12:13]
	v_add_f64_e64 v[154:155], v[54:55], -v[60:61]
	v_add_f64_e32 v[84:85], v[60:61], v[54:55]
	v_add_f64_e64 v[20:21], v[12:13], -v[50:51]
	v_add_f64_e64 v[22:23], v[58:59], -v[48:49]
	v_add_f64_e32 v[10:11], v[88:89], v[52:53]
	v_add_f64_e32 v[12:13], v[56:57], v[62:63]
	v_add_f64_e64 v[14:15], v[134:135], -v[136:137]
	v_add_f64_e32 v[16:17], v[136:137], v[134:135]
	v_add_f64_e64 v[18:19], v[62:63], -v[56:57]
	v_add_f64_e64 v[0:1], v[52:53], -v[88:89]
	v_and_b32_e32 v48, 0xffff, v125
	v_and_b32_e32 v49, 0xffff, v124
	v_add3_u32 v135, 0, v43, v40
	ds_load_b64 v[124:125], v129
	global_wb scope:SCOPE_SE
	s_wait_dscnt 0x0
	v_mul_u32_u24_e32 v48, 0x2a0, v48
	v_mul_u32_u24_e32 v49, 0x2a0, v49
	s_barrier_signal -1
	s_barrier_wait -1
	global_inv scope:SCOPE_SE
	v_add3_u32 v134, 0, v48, v41
	v_add3_u32 v133, 0, v49, v42
	ds_store_2addr_b64 v135, v[158:159], v[138:139] offset1:12
	ds_store_2addr_b64 v135, v[140:141], v[142:143] offset0:24 offset1:36
	ds_store_2addr_b64 v135, v[144:145], v[146:147] offset0:48 offset1:60
	ds_store_b64 v135, v[148:149] offset:576
	ds_store_2addr_b64 v134, v[164:165], v[150:151] offset1:12
	ds_store_2addr_b64 v134, v[152:153], v[154:155] offset0:24 offset1:36
	ds_store_2addr_b64 v134, v[84:85], v[20:21] offset0:48 offset1:60
	ds_store_b64 v134, v[22:23] offset:576
	;; [unrolled: 4-line block ×3, first 2 shown]
	global_wb scope:SCOPE_SE
	s_wait_dscnt 0x0
	s_barrier_signal -1
	s_barrier_wait -1
	global_inv scope:SCOPE_SE
	ds_load_2addr_b64 v[40:43], v128 offset1:84
	ds_load_2addr_b64 v[60:63], v128 offset0:168 offset1:252
	ds_load_2addr_b64 v[52:55], v131 offset0:80 offset1:164
	;; [unrolled: 1-line block ×4, first 2 shown]
	ds_load_b64 v[88:89], v128 offset:6720
	s_and_saveexec_b32 s1, s0
	s_cbranch_execz .LBB0_29
; %bb.28:
	v_add_nc_u32_e32 v0, 0x800, v128
	v_add_nc_u32_e32 v1, 0x1000, v128
	;; [unrolled: 1-line block ×3, first 2 shown]
	ds_load_b64 v[84:85], v129
	ds_load_2addr_b64 v[20:23], v128 offset0:128 offset1:212
	ds_load_2addr_b64 v[8:11], v0 offset0:40 offset1:124
	;; [unrolled: 1-line block ×5, first 2 shown]
.LBB0_29:
	s_wait_alu 0xfffe
	s_or_b32 exec_lo, exec_lo, s1
	v_add_f64_e32 v[108:109], v[108:109], v[114:115]
	v_add_f64_e32 v[106:107], v[106:107], v[110:111]
	;; [unrolled: 1-line block ×7, first 2 shown]
	v_add_f64_e64 v[32:33], v[32:33], -v[36:37]
	v_add_f64_e64 v[36:37], v[76:77], -v[72:73]
	;; [unrolled: 1-line block ×3, first 2 shown]
	v_add_f64_e32 v[72:73], v[82:83], v[86:87]
	v_add_f64_e64 v[38:39], v[66:67], -v[38:39]
	v_add_f64_e64 v[26:27], v[78:79], -v[26:27]
	v_add_f64_e64 v[34:35], v[34:35], -v[44:45]
	v_add_f64_e64 v[66:67], v[68:69], -v[70:71]
	v_add_f64_e32 v[68:69], v[92:93], v[118:119]
	v_add_f64_e64 v[70:71], v[116:117], -v[90:91]
	v_add_f64_e64 v[46:47], v[46:47], -v[64:65]
	global_wb scope:SCOPE_SE
	s_wait_dscnt 0x0
	s_barrier_signal -1
	s_barrier_wait -1
	global_inv scope:SCOPE_SE
	v_add_f64_e32 v[30:31], v[106:107], v[108:109]
	v_add_f64_e32 v[44:45], v[98:99], v[102:103]
	;; [unrolled: 1-line block ×3, first 2 shown]
	v_add_f64_e64 v[76:77], v[108:109], -v[74:75]
	v_add_f64_e64 v[78:79], v[74:75], -v[106:107]
	;; [unrolled: 1-line block ×8, first 2 shown]
	v_add_f64_e32 v[32:33], v[36:37], v[32:33]
	v_add_f64_e64 v[36:37], v[28:29], -v[36:37]
	v_add_f64_e64 v[100:101], v[70:71], -v[66:67]
	;; [unrolled: 1-line block ×3, first 2 shown]
	v_add_f64_e32 v[38:39], v[26:27], v[38:39]
	v_add_f64_e32 v[66:67], v[70:71], v[66:67]
	v_add_f64_e64 v[98:99], v[98:99], -v[102:103]
	v_add_f64_e64 v[26:27], v[34:35], -v[26:27]
	;; [unrolled: 1-line block ×3, first 2 shown]
	v_add_f64_e32 v[30:31], v[74:75], v[30:31]
	v_add_f64_e64 v[74:75], v[102:103], -v[72:73]
	v_add_f64_e32 v[44:45], v[72:73], v[44:45]
	v_add_f64_e64 v[72:73], v[96:97], -v[68:69]
	;; [unrolled: 2-line block ×3, first 2 shown]
	v_mul_f64_e32 v[76:77], s[12:13], v[76:77]
	v_mul_f64_e32 v[80:81], s[14:15], v[80:81]
	;; [unrolled: 1-line block ×7, first 2 shown]
	v_add_f64_e32 v[28:29], v[32:33], v[28:29]
	v_mul_f64_e32 v[100:101], s[14:15], v[100:101]
	v_mul_f64_e32 v[120:121], s[2:3], v[104:105]
	v_add_f64_e32 v[32:33], v[38:39], v[34:35]
	v_add_f64_e32 v[34:35], v[66:67], v[46:47]
	;; [unrolled: 1-line block ×3, first 2 shown]
	v_mul_f64_e32 v[74:75], s[12:13], v[74:75]
	v_add_f64_e32 v[118:119], v[124:125], v[44:45]
	v_mul_f64_e32 v[72:73], s[12:13], v[72:73]
	v_add_f64_e32 v[24:25], v[4:5], v[64:65]
	v_add_f64_e64 v[4:5], v[94:95], -v[96:97]
	v_mul_f64_e32 v[94:95], s[6:7], v[68:69]
	v_fma_f64 v[38:39], v[78:79], s[6:7], v[76:77]
	v_fma_f64 v[66:67], v[106:107], s[20:21], -v[76:77]
	v_fma_f64 v[76:77], v[36:37], s[24:25], v[80:81]
	v_fma_f64 v[78:79], v[82:83], s[2:3], -v[80:81]
	v_fma_f64 v[36:37], v[36:37], s[22:23], -v[102:103]
	;; [unrolled: 1-line block ×5, first 2 shown]
	v_fma_f64 v[30:31], v[30:31], s[18:19], v[110:111]
	v_fma_f64 v[80:81], v[86:87], s[6:7], v[74:75]
	;; [unrolled: 1-line block ×3, first 2 shown]
	v_fma_f64 v[90:91], v[92:93], s[2:3], -v[90:91]
	v_fma_f64 v[26:27], v[26:27], s[22:23], -v[116:117]
	v_fma_f64 v[44:45], v[44:45], s[18:19], v[118:119]
	v_fma_f64 v[74:75], v[98:99], s[20:21], -v[74:75]
	v_fma_f64 v[68:69], v[68:69], s[6:7], v[72:73]
	v_fma_f64 v[92:93], v[70:71], s[24:25], v[100:101]
	;; [unrolled: 1-line block ×3, first 2 shown]
	v_fma_f64 v[70:71], v[70:71], s[22:23], -v[120:121]
	v_fma_f64 v[72:73], v[4:5], s[20:21], -v[72:73]
	v_fma_f64 v[4:5], v[4:5], s[16:17], -v[94:95]
	v_fma_f64 v[76:77], v[28:29], s[26:27], v[76:77]
	v_fma_f64 v[78:79], v[28:29], s[26:27], v[78:79]
	;; [unrolled: 1-line block ×3, first 2 shown]
	v_add_f64_e32 v[36:37], v[38:39], v[30:31]
	v_add_f64_e32 v[38:39], v[66:67], v[30:31]
	v_add_f64_e32 v[30:31], v[46:47], v[30:31]
	v_fma_f64 v[46:47], v[32:33], s[26:27], v[86:87]
	v_fma_f64 v[66:67], v[32:33], s[26:27], v[90:91]
	;; [unrolled: 1-line block ×3, first 2 shown]
	v_add_f64_e32 v[32:33], v[80:81], v[44:45]
	v_add_f64_e32 v[74:75], v[74:75], v[44:45]
	;; [unrolled: 1-line block ×3, first 2 shown]
	v_fma_f64 v[80:81], v[34:35], s[26:27], v[92:93]
	v_add_f64_e32 v[68:69], v[68:69], v[64:65]
	v_fma_f64 v[82:83], v[34:35], s[26:27], v[96:97]
	v_fma_f64 v[34:35], v[34:35], s[26:27], v[70:71]
	v_add_f64_e32 v[70:71], v[72:73], v[64:65]
	v_add_f64_e32 v[4:5], v[4:5], v[64:65]
	v_add_f64_e64 v[64:65], v[36:37], -v[76:77]
	v_add_f64_e64 v[72:73], v[38:39], -v[28:29]
	v_add_f64_e32 v[90:91], v[78:79], v[30:31]
	v_add_f64_e64 v[78:79], v[30:31], -v[78:79]
	v_add_f64_e32 v[92:93], v[28:29], v[38:39]
	v_add_f64_e32 v[76:77], v[76:77], v[36:37]
	v_add_f64_e64 v[94:95], v[32:33], -v[46:47]
	v_add_f64_e64 v[96:97], v[74:75], -v[26:27]
	v_add_f64_e32 v[98:99], v[66:67], v[44:45]
	v_add_f64_e64 v[86:87], v[44:45], -v[66:67]
	;; [unrolled: 6-line block ×3, first 2 shown]
	v_add_f64_e32 v[34:35], v[34:35], v[70:71]
	v_add_f64_e32 v[4:5], v[80:81], v[68:69]
	v_add_nc_u32_e32 v80, 0x800, v128
	v_add_nc_u32_e32 v81, 0x1000, v128
	ds_store_2addr_b64 v135, v[110:111], v[64:65] offset1:12
	ds_store_2addr_b64 v135, v[72:73], v[90:91] offset0:24 offset1:36
	ds_store_2addr_b64 v135, v[78:79], v[92:93] offset0:48 offset1:60
	ds_store_b64 v135, v[76:77] offset:576
	ds_store_2addr_b64 v134, v[118:119], v[94:95] offset1:12
	ds_store_2addr_b64 v134, v[96:97], v[98:99] offset0:24 offset1:36
	ds_store_2addr_b64 v134, v[86:87], v[36:37] offset0:48 offset1:60
	ds_store_b64 v134, v[38:39] offset:576
	;; [unrolled: 4-line block ×3, first 2 shown]
	global_wb scope:SCOPE_SE
	s_wait_dscnt 0x0
	s_barrier_signal -1
	s_barrier_wait -1
	global_inv scope:SCOPE_SE
	ds_load_2addr_b64 v[44:47], v128 offset1:84
	ds_load_2addr_b64 v[76:79], v128 offset0:168 offset1:252
	ds_load_2addr_b64 v[68:71], v80 offset0:80 offset1:164
	;; [unrolled: 1-line block ×4, first 2 shown]
	ds_load_b64 v[90:91], v128 offset:6720
	s_and_saveexec_b32 s1, s0
	s_cbranch_execz .LBB0_31
; %bb.30:
	v_add_nc_u32_e32 v4, 0xc00, v128
	v_add_nc_u32_e32 v5, 0x1800, v128
	ds_load_b64 v[86:87], v129
	ds_load_2addr_b64 v[36:39], v128 offset0:128 offset1:212
	ds_load_2addr_b64 v[24:27], v80 offset0:40 offset1:124
	;; [unrolled: 1-line block ×5, first 2 shown]
.LBB0_31:
	s_wait_alu 0xfffe
	s_or_b32 exec_lo, exec_lo, s1
	s_and_saveexec_b32 s1, vcc_lo
	s_cbranch_execz .LBB0_34
; %bb.32:
	v_mul_u32_u24_e32 v80, 10, v126
	s_mov_b32 s12, 0xf8bb580b
	s_mov_b32 s13, 0x3fe14ced
	s_mov_b32 s17, 0xbfe14ced
	s_wait_alu 0xfffe
	s_mov_b32 s16, s12
	v_lshlrev_b32_e32 v92, 4, v80
	s_mov_b32 s2, 0x8eee2c13
	s_mov_b32 s14, 0x8764f0ba
	;; [unrolled: 1-line block ×4, first 2 shown]
	global_load_b128 v[80:83], v92, s[4:5] offset:1328
	s_mov_b32 s6, 0xd9c712b6
	s_mov_b32 s7, 0x3fda9628
	;; [unrolled: 1-line block ×14, first 2 shown]
	v_add_nc_u32_e32 v116, 0x54, v126
	s_mov_b32 s35, 0x3fd207e7
	s_wait_alu 0xfffe
	s_mov_b32 s34, s26
	s_mov_b32 s29, 0x3fefac9e
	;; [unrolled: 1-line block ×3, first 2 shown]
	v_add_nc_u32_e32 v158, 0xfc, v126
	v_add_nc_u32_e32 v138, 0xa8, v126
	;; [unrolled: 1-line block ×3, first 2 shown]
	s_wait_loadcnt_dscnt 0x4
	v_mul_f64_e32 v[93:94], v[76:77], v[82:83]
	s_delay_alu instid0(VALU_DEP_1) | instskip(SKIP_1) | instid1(VALU_DEP_1)
	v_fma_f64 v[93:94], v[60:61], v[80:81], v[93:94]
	v_mul_f64_e32 v[60:61], v[60:61], v[82:83]
	v_fma_f64 v[76:77], v[76:77], v[80:81], -v[60:61]
	global_load_b128 v[80:83], v92, s[4:5] offset:1344
	s_wait_loadcnt 0x0
	v_mul_f64_e32 v[60:61], v[78:79], v[82:83]
	s_delay_alu instid0(VALU_DEP_1) | instskip(SKIP_1) | instid1(VALU_DEP_1)
	v_fma_f64 v[95:96], v[62:63], v[80:81], v[60:61]
	v_mul_f64_e32 v[60:61], v[62:63], v[82:83]
	v_fma_f64 v[78:79], v[78:79], v[80:81], -v[60:61]
	global_load_b128 v[60:63], v92, s[4:5] offset:1424
	s_wait_loadcnt_dscnt 0x1
	v_mul_f64_e32 v[80:81], v[72:73], v[62:63]
	s_delay_alu instid0(VALU_DEP_1)
	v_fma_f64 v[82:83], v[56:57], v[60:61], v[80:81]
	v_mul_f64_e32 v[56:57], v[56:57], v[62:63]
	v_add_co_u32 v80, vcc_lo, s10, v112
	s_wait_alu 0xfffd
	v_add_co_ci_u32_e32 v81, vcc_lo, s11, v113, vcc_lo
	s_mov_b32 s11, 0xbfed1bb4
	s_mov_b32 s10, s2
	s_delay_alu instid0(VALU_DEP_3) | instskip(SKIP_3) | instid1(VALU_DEP_1)
	v_fma_f64 v[72:73], v[72:73], v[60:61], -v[56:57]
	global_load_b128 v[60:63], v92, s[4:5] offset:1440
	s_wait_loadcnt 0x0
	v_mul_f64_e32 v[56:57], v[74:75], v[62:63]
	v_fma_f64 v[97:98], v[58:59], v[60:61], v[56:57]
	v_mul_f64_e32 v[56:57], v[58:59], v[62:63]
	s_delay_alu instid0(VALU_DEP_1) | instskip(SKIP_3) | instid1(VALU_DEP_1)
	v_fma_f64 v[74:75], v[74:75], v[60:61], -v[56:57]
	global_load_b128 v[56:59], v92, s[4:5] offset:1360
	s_wait_loadcnt 0x0
	v_mul_f64_e32 v[60:61], v[68:69], v[58:59]
	v_fma_f64 v[99:100], v[52:53], v[56:57], v[60:61]
	v_mul_f64_e32 v[52:53], v[52:53], v[58:59]
	s_delay_alu instid0(VALU_DEP_1)
	v_fma_f64 v[68:69], v[68:69], v[56:57], -v[52:53]
	s_clause 0x1
	global_load_b128 v[56:59], v92, s[4:5] offset:1376
	global_load_b128 v[60:63], v92, s[4:5] offset:1392
	s_wait_loadcnt 0x1
	v_mul_f64_e32 v[52:53], v[54:55], v[58:59]
	s_delay_alu instid0(VALU_DEP_1) | instskip(SKIP_1) | instid1(VALU_DEP_1)
	v_fma_f64 v[101:102], v[70:71], v[56:57], -v[52:53]
	v_mul_f64_e32 v[52:53], v[70:71], v[58:59]
	v_fma_f64 v[56:57], v[54:55], v[56:57], v[52:53]
	global_load_b128 v[52:55], v92, s[4:5] offset:1408
	s_wait_loadcnt 0x0
	v_mul_f64_e32 v[58:59], v[66:67], v[54:55]
	s_delay_alu instid0(VALU_DEP_1) | instskip(SKIP_1) | instid1(VALU_DEP_1)
	v_fma_f64 v[58:59], v[50:51], v[52:53], v[58:59]
	v_mul_f64_e32 v[50:51], v[50:51], v[54:55]
	v_fma_f64 v[52:53], v[66:67], v[52:53], -v[50:51]
	v_mul_f64_e32 v[50:51], v[48:49], v[62:63]
	s_delay_alu instid0(VALU_DEP_1) | instskip(SKIP_1) | instid1(VALU_DEP_1)
	v_fma_f64 v[54:55], v[64:65], v[60:61], -v[50:51]
	v_mul_f64_e32 v[50:51], v[64:65], v[62:63]
	v_fma_f64 v[60:61], v[48:49], v[60:61], v[50:51]
	global_load_b128 v[48:51], v92, s[4:5] offset:1456
	s_wait_loadcnt_dscnt 0x0
	v_mul_f64_e32 v[62:63], v[90:91], v[50:51]
	v_mul_f64_e32 v[50:51], v[88:89], v[50:51]
	s_delay_alu instid0(VALU_DEP_2) | instskip(NEXT) | instid1(VALU_DEP_2)
	v_fma_f64 v[62:63], v[88:89], v[48:49], v[62:63]
	v_fma_f64 v[64:65], v[90:91], v[48:49], -v[50:51]
	global_load_b128 v[48:51], v92, s[4:5] offset:1312
	v_add_f64_e32 v[88:89], v[93:94], v[97:98]
	v_add_f64_e32 v[90:91], v[101:102], v[54:55]
	s_wait_loadcnt 0x0
	v_mul_f64_e32 v[66:67], v[42:43], v[50:51]
	s_delay_alu instid0(VALU_DEP_1) | instskip(SKIP_1) | instid1(VALU_DEP_1)
	v_fma_f64 v[66:67], v[46:47], v[48:49], -v[66:67]
	v_mul_f64_e32 v[46:47], v[46:47], v[50:51]
	v_fma_f64 v[42:43], v[42:43], v[48:49], v[46:47]
	s_delay_alu instid0(VALU_DEP_3) | instskip(NEXT) | instid1(VALU_DEP_2)
	v_add_f64_e32 v[46:47], v[44:45], v[66:67]
	v_add_f64_e32 v[48:49], v[40:41], v[42:43]
	s_delay_alu instid0(VALU_DEP_2) | instskip(NEXT) | instid1(VALU_DEP_2)
	v_add_f64_e32 v[46:47], v[76:77], v[46:47]
	v_add_f64_e32 v[48:49], v[93:94], v[48:49]
	s_delay_alu instid0(VALU_DEP_2) | instskip(NEXT) | instid1(VALU_DEP_2)
	;; [unrolled: 3-line block ×4, first 2 shown]
	v_add_f64_e32 v[46:47], v[101:102], v[46:47]
	v_add_f64_e32 v[48:49], v[56:57], v[48:49]
	s_delay_alu instid0(VALU_DEP_2) | instskip(SKIP_1) | instid1(VALU_DEP_3)
	v_add_f64_e32 v[46:47], v[54:55], v[46:47]
	v_add_f64_e64 v[54:55], v[101:102], -v[54:55]
	v_add_f64_e32 v[48:49], v[60:61], v[48:49]
	s_delay_alu instid0(VALU_DEP_3) | instskip(NEXT) | instid1(VALU_DEP_3)
	v_add_f64_e32 v[46:47], v[52:53], v[46:47]
	v_mul_f64_e32 v[114:115], s[26:27], v[54:55]
	v_mul_f64_e32 v[136:137], s[12:13], v[54:55]
	;; [unrolled: 1-line block ×5, first 2 shown]
	v_add_f64_e32 v[48:49], v[58:59], v[48:49]
	v_add_f64_e32 v[46:47], v[72:73], v[46:47]
	s_delay_alu instid0(VALU_DEP_2) | instskip(NEXT) | instid1(VALU_DEP_2)
	v_add_f64_e32 v[48:49], v[82:83], v[48:49]
	v_add_f64_e32 v[46:47], v[74:75], v[46:47]
	s_delay_alu instid0(VALU_DEP_2) | instskip(NEXT) | instid1(VALU_DEP_2)
	v_add_f64_e32 v[50:51], v[97:98], v[48:49]
	v_add_f64_e32 v[48:49], v[64:65], v[46:47]
	s_delay_alu instid0(VALU_DEP_2) | instskip(SKIP_1) | instid1(VALU_DEP_1)
	v_add_f64_e32 v[46:47], v[62:63], v[50:51]
	v_mad_co_u64_u32 v[50:51], null, s8, v126, 0
	v_mad_co_u64_u32 v[70:71], null, s9, v126, v[51:52]
	s_delay_alu instid0(VALU_DEP_1)
	v_mov_b32_e32 v51, v70
	v_add_f64_e32 v[70:71], v[76:77], v[74:75]
	v_add_f64_e64 v[74:75], v[76:77], -v[74:75]
	v_add_f64_e64 v[76:77], v[93:94], -v[97:98]
	;; [unrolled: 1-line block ×3, first 2 shown]
	v_lshlrev_b64_e32 v[50:51], 4, v[50:51]
	v_add_f64_e32 v[56:57], v[56:57], v[60:61]
	v_add_f64_e32 v[60:61], v[78:79], v[72:73]
	v_add_f64_e64 v[72:73], v[78:79], -v[72:73]
	v_add_f64_e64 v[78:79], v[95:96], -v[82:83]
	v_add_f64_e32 v[82:83], v[95:96], v[82:83]
	v_add_co_u32 v50, vcc_lo, v80, v50
	s_wait_alu 0xfffd
	v_add_co_ci_u32_e32 v51, vcc_lo, v81, v51, vcc_lo
	global_store_b128 v[50:51], v[46:49], off
	v_add_f64_e64 v[50:51], v[66:67], -v[64:65]
	v_add_f64_e32 v[64:65], v[66:67], v[64:65]
	v_add_f64_e64 v[66:67], v[42:43], -v[62:63]
	v_add_f64_e32 v[42:43], v[42:43], v[62:63]
	v_add_f64_e32 v[62:63], v[68:69], v[52:53]
	v_add_f64_e64 v[52:53], v[68:69], -v[52:53]
	v_add_f64_e64 v[68:69], v[99:100], -v[58:59]
	v_add_f64_e32 v[58:59], v[99:100], v[58:59]
	s_wait_alu 0xfffe
	v_mul_f64_e32 v[100:101], s[10:11], v[74:75]
	v_mul_f64_e32 v[96:97], s[10:11], v[76:77]
	v_mul_f64_e32 v[112:113], s[26:27], v[92:93]
	v_mul_f64_e32 v[120:121], s[22:23], v[74:75]
	v_mul_f64_e32 v[134:135], s[12:13], v[92:93]
	v_mul_f64_e32 v[142:143], s[34:35], v[74:75]
	v_mul_f64_e32 v[154:155], s[22:23], v[92:93]
	v_mul_f64_e32 v[162:163], s[28:29], v[74:75]
	v_mul_f64_e32 v[174:175], s[2:3], v[92:93]
	v_mul_f64_e32 v[98:99], s[16:17], v[50:51]
	v_mul_f64_e32 v[118:119], s[10:11], v[50:51]
	v_mul_f64_e32 v[94:95], s[16:17], v[66:67]
	v_mul_f64_e32 v[140:141], s[18:19], v[50:51]
	v_mul_f64_e32 v[160:161], s[22:23], v[50:51]
	v_fma_f64 v[102:103], v[88:89], s[6:7], v[100:101]
	v_fma_f64 v[48:49], v[70:71], s[6:7], -v[96:97]
	v_fma_f64 v[122:123], v[88:89], s[24:25], v[120:121]
	v_fma_f64 v[144:145], v[88:89], s[30:31], v[142:143]
	;; [unrolled: 1-line block ×3, first 2 shown]
	v_fma_f64 v[46:47], v[64:65], s[14:15], -v[94:95]
	s_delay_alu instid0(VALU_DEP_1) | instskip(NEXT) | instid1(VALU_DEP_1)
	v_add_f64_e32 v[46:47], v[44:45], v[46:47]
	v_add_f64_e32 v[46:47], v[48:49], v[46:47]
	v_fma_f64 v[48:49], v[42:43], s[14:15], v[98:99]
	s_delay_alu instid0(VALU_DEP_1) | instskip(NEXT) | instid1(VALU_DEP_1)
	v_add_f64_e32 v[48:49], v[40:41], v[48:49]
	v_add_f64_e32 v[48:49], v[102:103], v[48:49]
	v_mul_f64_e32 v[102:103], s[18:19], v[78:79]
	s_delay_alu instid0(VALU_DEP_1) | instskip(NEXT) | instid1(VALU_DEP_1)
	v_fma_f64 v[104:105], v[60:61], s[20:21], -v[102:103]
	v_add_f64_e32 v[46:47], v[104:105], v[46:47]
	v_mul_f64_e32 v[104:105], s[18:19], v[72:73]
	s_delay_alu instid0(VALU_DEP_1) | instskip(NEXT) | instid1(VALU_DEP_1)
	v_fma_f64 v[106:107], v[82:83], s[20:21], v[104:105]
	v_add_f64_e32 v[48:49], v[106:107], v[48:49]
	v_mul_f64_e32 v[106:107], s[22:23], v[68:69]
	s_delay_alu instid0(VALU_DEP_1) | instskip(NEXT) | instid1(VALU_DEP_1)
	v_fma_f64 v[108:109], v[62:63], s[24:25], -v[106:107]
	v_add_f64_e32 v[46:47], v[108:109], v[46:47]
	v_mul_f64_e32 v[108:109], s[22:23], v[52:53]
	s_delay_alu instid0(VALU_DEP_1) | instskip(NEXT) | instid1(VALU_DEP_1)
	v_fma_f64 v[110:111], v[58:59], s[24:25], v[108:109]
	v_add_f64_e32 v[110:111], v[110:111], v[48:49]
	v_fma_f64 v[48:49], v[90:91], s[30:31], -v[112:113]
	s_delay_alu instid0(VALU_DEP_1) | instskip(SKIP_1) | instid1(VALU_DEP_1)
	v_add_f64_e32 v[48:49], v[48:49], v[46:47]
	v_fma_f64 v[46:47], v[56:57], s[30:31], v[114:115]
	v_add_f64_e32 v[46:47], v[46:47], v[110:111]
	v_mad_co_u64_u32 v[110:111], null, s8, v116, 0
	s_delay_alu instid0(VALU_DEP_1) | instskip(NEXT) | instid1(VALU_DEP_1)
	v_mad_co_u64_u32 v[116:117], null, s9, v116, v[111:112]
	v_mov_b32_e32 v111, v116
	v_mul_f64_e32 v[116:117], s[22:23], v[76:77]
	s_delay_alu instid0(VALU_DEP_2) | instskip(NEXT) | instid1(VALU_DEP_1)
	v_lshlrev_b64_e32 v[110:111], 4, v[110:111]
	v_add_co_u32 v110, vcc_lo, v80, v110
	s_wait_alu 0xfffd
	s_delay_alu instid0(VALU_DEP_2) | instskip(SKIP_3) | instid1(VALU_DEP_2)
	v_add_co_ci_u32_e32 v111, vcc_lo, v81, v111, vcc_lo
	global_store_b128 v[110:111], v[46:49], off
	v_mul_f64_e32 v[110:111], s[10:11], v[66:67]
	v_fma_f64 v[48:49], v[70:71], s[24:25], -v[116:117]
	v_fma_f64 v[46:47], v[64:65], s[6:7], -v[110:111]
	v_fma_f64 v[110:111], v[64:65], s[6:7], v[110:111]
	s_delay_alu instid0(VALU_DEP_2) | instskip(NEXT) | instid1(VALU_DEP_2)
	v_add_f64_e32 v[46:47], v[44:45], v[46:47]
	v_add_f64_e32 v[110:111], v[44:45], v[110:111]
	s_delay_alu instid0(VALU_DEP_2) | instskip(SKIP_2) | instid1(VALU_DEP_2)
	v_add_f64_e32 v[46:47], v[48:49], v[46:47]
	v_fma_f64 v[48:49], v[42:43], s[6:7], v[118:119]
	v_fma_f64 v[118:119], v[42:43], s[6:7], -v[118:119]
	v_add_f64_e32 v[48:49], v[40:41], v[48:49]
	s_delay_alu instid0(VALU_DEP_2) | instskip(NEXT) | instid1(VALU_DEP_2)
	v_add_f64_e32 v[118:119], v[40:41], v[118:119]
	v_add_f64_e32 v[48:49], v[122:123], v[48:49]
	v_mul_f64_e32 v[122:123], s[34:35], v[78:79]
	s_delay_alu instid0(VALU_DEP_1) | instskip(NEXT) | instid1(VALU_DEP_1)
	v_fma_f64 v[124:125], v[60:61], s[30:31], -v[122:123]
	v_add_f64_e32 v[46:47], v[124:125], v[46:47]
	v_mul_f64_e32 v[124:125], s[34:35], v[72:73]
	s_delay_alu instid0(VALU_DEP_1) | instskip(NEXT) | instid1(VALU_DEP_1)
	v_fma_f64 v[128:129], v[82:83], s[30:31], v[124:125]
	v_add_f64_e32 v[48:49], v[128:129], v[48:49]
	v_mul_f64_e32 v[128:129], s[28:29], v[68:69]
	s_delay_alu instid0(VALU_DEP_1) | instskip(NEXT) | instid1(VALU_DEP_1)
	v_fma_f64 v[130:131], v[62:63], s[20:21], -v[128:129]
	v_add_f64_e32 v[46:47], v[130:131], v[46:47]
	v_mul_f64_e32 v[130:131], s[28:29], v[52:53]
	s_delay_alu instid0(VALU_DEP_1) | instskip(NEXT) | instid1(VALU_DEP_1)
	v_fma_f64 v[132:133], v[58:59], s[20:21], v[130:131]
	v_add_f64_e32 v[132:133], v[132:133], v[48:49]
	v_fma_f64 v[48:49], v[90:91], s[14:15], -v[134:135]
	s_delay_alu instid0(VALU_DEP_1) | instskip(SKIP_1) | instid1(VALU_DEP_1)
	v_add_f64_e32 v[48:49], v[48:49], v[46:47]
	v_fma_f64 v[46:47], v[56:57], s[14:15], v[136:137]
	v_add_f64_e32 v[46:47], v[46:47], v[132:133]
	v_mad_co_u64_u32 v[132:133], null, s8, v138, 0
	s_delay_alu instid0(VALU_DEP_1) | instskip(NEXT) | instid1(VALU_DEP_1)
	v_mad_co_u64_u32 v[138:139], null, s9, v138, v[133:134]
	v_mov_b32_e32 v133, v138
	v_mul_f64_e32 v[138:139], s[34:35], v[76:77]
	s_delay_alu instid0(VALU_DEP_2) | instskip(NEXT) | instid1(VALU_DEP_1)
	v_lshlrev_b64_e32 v[132:133], 4, v[132:133]
	v_add_co_u32 v132, vcc_lo, v80, v132
	s_wait_alu 0xfffd
	s_delay_alu instid0(VALU_DEP_2) | instskip(SKIP_3) | instid1(VALU_DEP_2)
	v_add_co_ci_u32_e32 v133, vcc_lo, v81, v133, vcc_lo
	global_store_b128 v[132:133], v[46:49], off
	v_mul_f64_e32 v[132:133], s[18:19], v[66:67]
	v_fma_f64 v[48:49], v[70:71], s[30:31], -v[138:139]
	v_fma_f64 v[46:47], v[64:65], s[20:21], -v[132:133]
	v_fma_f64 v[132:133], v[64:65], s[20:21], v[132:133]
	s_delay_alu instid0(VALU_DEP_2) | instskip(NEXT) | instid1(VALU_DEP_1)
	v_add_f64_e32 v[46:47], v[44:45], v[46:47]
	v_add_f64_e32 v[46:47], v[48:49], v[46:47]
	v_fma_f64 v[48:49], v[42:43], s[20:21], v[140:141]
	v_fma_f64 v[140:141], v[42:43], s[20:21], -v[140:141]
	s_delay_alu instid0(VALU_DEP_2) | instskip(NEXT) | instid1(VALU_DEP_1)
	v_add_f64_e32 v[48:49], v[40:41], v[48:49]
	v_add_f64_e32 v[48:49], v[144:145], v[48:49]
	v_mul_f64_e32 v[144:145], s[2:3], v[78:79]
	s_delay_alu instid0(VALU_DEP_1) | instskip(NEXT) | instid1(VALU_DEP_1)
	v_fma_f64 v[146:147], v[60:61], s[6:7], -v[144:145]
	v_add_f64_e32 v[46:47], v[146:147], v[46:47]
	v_mul_f64_e32 v[146:147], s[2:3], v[72:73]
	s_delay_alu instid0(VALU_DEP_1) | instskip(NEXT) | instid1(VALU_DEP_1)
	v_fma_f64 v[148:149], v[82:83], s[6:7], v[146:147]
	v_add_f64_e32 v[48:49], v[148:149], v[48:49]
	v_mul_f64_e32 v[148:149], s[16:17], v[68:69]
	s_delay_alu instid0(VALU_DEP_1) | instskip(NEXT) | instid1(VALU_DEP_1)
	v_fma_f64 v[150:151], v[62:63], s[14:15], -v[148:149]
	v_add_f64_e32 v[46:47], v[150:151], v[46:47]
	v_mul_f64_e32 v[150:151], s[16:17], v[52:53]
	s_delay_alu instid0(VALU_DEP_1) | instskip(NEXT) | instid1(VALU_DEP_1)
	v_fma_f64 v[152:153], v[58:59], s[14:15], v[150:151]
	v_add_f64_e32 v[152:153], v[152:153], v[48:49]
	v_fma_f64 v[48:49], v[90:91], s[24:25], -v[154:155]
	s_delay_alu instid0(VALU_DEP_1) | instskip(SKIP_1) | instid1(VALU_DEP_1)
	v_add_f64_e32 v[48:49], v[48:49], v[46:47]
	v_fma_f64 v[46:47], v[56:57], s[24:25], v[156:157]
	v_add_f64_e32 v[46:47], v[46:47], v[152:153]
	v_mad_co_u64_u32 v[152:153], null, s8, v158, 0
	s_delay_alu instid0(VALU_DEP_1) | instskip(NEXT) | instid1(VALU_DEP_1)
	v_mad_co_u64_u32 v[158:159], null, s9, v158, v[153:154]
	v_mov_b32_e32 v153, v158
	v_mul_f64_e32 v[158:159], s[28:29], v[76:77]
	v_mul_f64_e32 v[76:77], s[12:13], v[76:77]
	s_delay_alu instid0(VALU_DEP_3) | instskip(NEXT) | instid1(VALU_DEP_1)
	v_lshlrev_b64_e32 v[152:153], 4, v[152:153]
	v_add_co_u32 v152, vcc_lo, v80, v152
	s_wait_alu 0xfffd
	s_delay_alu instid0(VALU_DEP_2) | instskip(SKIP_3) | instid1(VALU_DEP_2)
	v_add_co_ci_u32_e32 v153, vcc_lo, v81, v153, vcc_lo
	global_store_b128 v[152:153], v[46:49], off
	v_mul_f64_e32 v[152:153], s[22:23], v[66:67]
	v_fma_f64 v[48:49], v[70:71], s[20:21], -v[158:159]
	v_fma_f64 v[46:47], v[64:65], s[24:25], -v[152:153]
	s_delay_alu instid0(VALU_DEP_1) | instskip(NEXT) | instid1(VALU_DEP_1)
	v_add_f64_e32 v[46:47], v[44:45], v[46:47]
	v_add_f64_e32 v[46:47], v[48:49], v[46:47]
	v_fma_f64 v[48:49], v[42:43], s[24:25], v[160:161]
	s_delay_alu instid0(VALU_DEP_1) | instskip(NEXT) | instid1(VALU_DEP_1)
	v_add_f64_e32 v[48:49], v[40:41], v[48:49]
	v_add_f64_e32 v[48:49], v[164:165], v[48:49]
	v_mul_f64_e32 v[164:165], s[16:17], v[78:79]
	s_delay_alu instid0(VALU_DEP_1) | instskip(NEXT) | instid1(VALU_DEP_1)
	v_fma_f64 v[166:167], v[60:61], s[14:15], -v[164:165]
	v_add_f64_e32 v[46:47], v[166:167], v[46:47]
	v_mul_f64_e32 v[166:167], s[16:17], v[72:73]
	v_mul_f64_e32 v[72:73], s[22:23], v[72:73]
	s_delay_alu instid0(VALU_DEP_2) | instskip(NEXT) | instid1(VALU_DEP_1)
	v_fma_f64 v[168:169], v[82:83], s[14:15], v[166:167]
	v_add_f64_e32 v[48:49], v[168:169], v[48:49]
	v_mul_f64_e32 v[168:169], s[26:27], v[68:69]
	v_mul_f64_e32 v[68:69], s[2:3], v[68:69]
	s_delay_alu instid0(VALU_DEP_2) | instskip(NEXT) | instid1(VALU_DEP_1)
	v_fma_f64 v[170:171], v[62:63], s[30:31], -v[168:169]
	v_add_f64_e32 v[46:47], v[170:171], v[46:47]
	v_mul_f64_e32 v[170:171], s[26:27], v[52:53]
	v_mul_f64_e32 v[52:53], s[2:3], v[52:53]
	s_delay_alu instid0(VALU_DEP_2) | instskip(NEXT) | instid1(VALU_DEP_1)
	v_fma_f64 v[172:173], v[58:59], s[30:31], v[170:171]
	v_add_f64_e32 v[172:173], v[172:173], v[48:49]
	v_fma_f64 v[48:49], v[90:91], s[6:7], -v[174:175]
	s_delay_alu instid0(VALU_DEP_1) | instskip(SKIP_1) | instid1(VALU_DEP_1)
	v_add_f64_e32 v[48:49], v[48:49], v[46:47]
	v_fma_f64 v[46:47], v[56:57], s[6:7], v[176:177]
	v_add_f64_e32 v[46:47], v[46:47], v[172:173]
	v_mad_co_u64_u32 v[172:173], null, s8, v178, 0
	s_delay_alu instid0(VALU_DEP_1) | instskip(NEXT) | instid1(VALU_DEP_1)
	v_mad_co_u64_u32 v[178:179], null, s9, v178, v[173:174]
	v_mov_b32_e32 v173, v178
	s_delay_alu instid0(VALU_DEP_1) | instskip(NEXT) | instid1(VALU_DEP_1)
	v_lshlrev_b64_e32 v[172:173], 4, v[172:173]
	v_add_co_u32 v172, vcc_lo, v80, v172
	s_wait_alu 0xfffd
	s_delay_alu instid0(VALU_DEP_2) | instskip(SKIP_3) | instid1(VALU_DEP_2)
	v_add_co_ci_u32_e32 v173, vcc_lo, v81, v173, vcc_lo
	global_store_b128 v[172:173], v[46:49], off
	v_mul_f64_e32 v[46:47], s[26:27], v[66:67]
	v_fma_f64 v[66:67], v[64:65], s[24:25], v[152:153]
	v_fma_f64 v[48:49], v[64:65], s[30:31], v[46:47]
	v_fma_f64 v[46:47], v[64:65], s[30:31], -v[46:47]
	v_fma_f64 v[64:65], v[64:65], s[14:15], v[94:95]
	s_delay_alu instid0(VALU_DEP_4)
	v_add_f64_e32 v[66:67], v[44:45], v[66:67]
	v_add_f64_e32 v[94:95], v[44:45], v[132:133]
	v_fma_f64 v[132:133], v[42:43], s[24:25], -v[160:161]
	v_add_f64_e32 v[48:49], v[44:45], v[48:49]
	v_add_f64_e32 v[46:47], v[44:45], v[46:47]
	;; [unrolled: 1-line block ×3, first 2 shown]
	v_mul_f64_e32 v[44:45], s[26:27], v[50:51]
	s_delay_alu instid0(VALU_DEP_1)
	v_fma_f64 v[50:51], v[42:43], s[30:31], -v[44:45]
	v_fma_f64 v[44:45], v[42:43], s[30:31], v[44:45]
	v_fma_f64 v[42:43], v[42:43], s[14:15], -v[98:99]
	v_add_f64_e32 v[98:99], v[40:41], v[132:133]
	v_add_f64_e32 v[132:133], v[40:41], v[140:141]
	;; [unrolled: 1-line block ×5, first 2 shown]
	v_fma_f64 v[40:41], v[70:71], s[14:15], v[76:77]
	s_delay_alu instid0(VALU_DEP_1) | instskip(SKIP_1) | instid1(VALU_DEP_1)
	v_add_f64_e32 v[40:41], v[40:41], v[48:49]
	v_mul_f64_e32 v[48:49], s[12:13], v[74:75]
	v_fma_f64 v[42:43], v[88:89], s[14:15], -v[48:49]
	v_fma_f64 v[48:49], v[88:89], s[14:15], v[48:49]
	s_delay_alu instid0(VALU_DEP_2) | instskip(SKIP_2) | instid1(VALU_DEP_4)
	v_add_f64_e32 v[42:43], v[42:43], v[50:51]
	v_mul_f64_e32 v[50:51], s[22:23], v[78:79]
	v_mul_f64_e32 v[78:79], s[18:19], v[92:93]
	v_add_f64_e32 v[44:45], v[48:49], v[44:45]
	v_fma_f64 v[92:93], v[82:83], s[6:7], -v[146:147]
	s_delay_alu instid0(VALU_DEP_4) | instskip(SKIP_2) | instid1(VALU_DEP_3)
	v_fma_f64 v[74:75], v[60:61], s[24:25], v[50:51]
	v_fma_f64 v[48:49], v[60:61], s[24:25], -v[50:51]
	v_fma_f64 v[50:51], v[56:57], s[20:21], v[54:55]
	v_add_f64_e32 v[40:41], v[74:75], v[40:41]
	v_fma_f64 v[74:75], v[82:83], s[24:25], -v[72:73]
	s_delay_alu instid0(VALU_DEP_1) | instskip(SKIP_1) | instid1(VALU_DEP_1)
	v_add_f64_e32 v[42:43], v[74:75], v[42:43]
	v_fma_f64 v[74:75], v[62:63], s[6:7], v[68:69]
	v_add_f64_e32 v[40:41], v[74:75], v[40:41]
	v_fma_f64 v[74:75], v[58:59], s[6:7], -v[52:53]
	s_delay_alu instid0(VALU_DEP_1) | instskip(SKIP_1) | instid1(VALU_DEP_1)
	v_add_f64_e32 v[74:75], v[74:75], v[42:43]
	v_fma_f64 v[42:43], v[90:91], s[20:21], v[78:79]
	v_add_f64_e32 v[42:43], v[42:43], v[40:41]
	v_fma_f64 v[40:41], v[56:57], s[20:21], -v[54:55]
	v_fma_f64 v[54:55], v[70:71], s[6:7], v[96:97]
	v_fma_f64 v[96:97], v[62:63], s[14:15], v[148:149]
	s_delay_alu instid0(VALU_DEP_3) | instskip(SKIP_3) | instid1(VALU_DEP_3)
	v_add_f64_e32 v[40:41], v[40:41], v[74:75]
	v_fma_f64 v[74:75], v[70:71], s[14:15], -v[76:77]
	v_fma_f64 v[76:77], v[60:61], s[14:15], v[164:165]
	v_add_f64_e32 v[54:55], v[54:55], v[64:65]
	v_add_f64_e32 v[46:47], v[74:75], v[46:47]
	v_fma_f64 v[74:75], v[88:89], s[6:7], -v[100:101]
	s_delay_alu instid0(VALU_DEP_2) | instskip(SKIP_2) | instid1(VALU_DEP_4)
	v_add_f64_e32 v[46:47], v[48:49], v[46:47]
	v_fma_f64 v[48:49], v[82:83], s[24:25], v[72:73]
	v_fma_f64 v[72:73], v[88:89], s[24:25], -v[120:121]
	v_add_f64_e32 v[64:65], v[74:75], v[140:141]
	v_fma_f64 v[74:75], v[62:63], s[30:31], v[168:169]
	s_delay_alu instid0(VALU_DEP_4) | instskip(SKIP_2) | instid1(VALU_DEP_2)
	v_add_f64_e32 v[44:45], v[48:49], v[44:45]
	v_fma_f64 v[48:49], v[62:63], s[6:7], -v[68:69]
	v_fma_f64 v[68:69], v[88:89], s[20:21], -v[162:163]
	v_add_f64_e32 v[46:47], v[48:49], v[46:47]
	v_fma_f64 v[48:49], v[58:59], s[6:7], v[52:53]
	v_fma_f64 v[52:53], v[70:71], s[24:25], v[116:117]
	s_delay_alu instid0(VALU_DEP_2) | instskip(SKIP_1) | instid1(VALU_DEP_3)
	v_add_f64_e32 v[44:45], v[48:49], v[44:45]
	v_fma_f64 v[48:49], v[90:91], s[20:21], -v[78:79]
	v_add_f64_e32 v[52:53], v[52:53], v[110:111]
	v_fma_f64 v[78:79], v[60:61], s[6:7], v[144:145]
	s_delay_alu instid0(VALU_DEP_4) | instskip(NEXT) | instid1(VALU_DEP_4)
	v_add_f64_e32 v[44:45], v[50:51], v[44:45]
	v_add_f64_e32 v[46:47], v[48:49], v[46:47]
	v_fma_f64 v[48:49], v[70:71], s[20:21], v[158:159]
	v_fma_f64 v[50:51], v[70:71], s[30:31], v[138:139]
	v_fma_f64 v[70:71], v[88:89], s[30:31], -v[142:143]
	v_fma_f64 v[88:89], v[60:61], s[30:31], v[122:123]
	v_fma_f64 v[60:61], v[60:61], s[20:21], v[102:103]
	v_add_f64_e32 v[48:49], v[48:49], v[66:67]
	v_add_f64_e32 v[66:67], v[68:69], v[98:99]
	;; [unrolled: 1-line block ×4, first 2 shown]
	v_fma_f64 v[72:73], v[82:83], s[14:15], -v[166:167]
	v_add_f64_e32 v[50:51], v[50:51], v[94:95]
	v_fma_f64 v[94:95], v[82:83], s[30:31], -v[124:125]
	v_fma_f64 v[82:83], v[82:83], s[20:21], -v[104:105]
	v_fma_f64 v[98:99], v[62:63], s[20:21], v[128:129]
	v_add_f64_e32 v[52:53], v[88:89], v[52:53]
	v_add_f64_e32 v[54:55], v[60:61], v[54:55]
	v_fma_f64 v[62:63], v[62:63], s[24:25], v[106:107]
	v_fma_f64 v[88:89], v[90:91], s[14:15], v[134:135]
	v_add_f64_e32 v[48:49], v[76:77], v[48:49]
	v_fma_f64 v[76:77], v[58:59], s[14:15], -v[150:151]
	v_add_f64_e32 v[68:69], v[92:93], v[68:69]
	v_fma_f64 v[92:93], v[56:57], s[30:31], -v[114:115]
	;; [unrolled: 2-line block ×3, first 2 shown]
	v_add_f64_e32 v[50:51], v[78:79], v[50:51]
	v_add_f64_e32 v[70:71], v[94:95], v[70:71]
	v_fma_f64 v[78:79], v[58:59], s[20:21], -v[130:131]
	v_add_f64_e32 v[60:61], v[82:83], v[64:65]
	v_fma_f64 v[64:65], v[90:91], s[6:7], v[174:175]
	v_fma_f64 v[58:59], v[58:59], s[24:25], -v[108:109]
	v_fma_f64 v[82:83], v[90:91], s[24:25], v[154:155]
	v_fma_f64 v[90:91], v[90:91], s[30:31], v[112:113]
	v_add_f64_e32 v[62:63], v[62:63], v[54:55]
	v_add_nc_u32_e32 v95, 0x1f8, v126
	v_add_f64_e32 v[48:49], v[74:75], v[48:49]
	v_add_f64_e32 v[74:75], v[98:99], v[52:53]
	;; [unrolled: 1-line block ×3, first 2 shown]
	v_fma_f64 v[52:53], v[56:57], s[6:7], -v[176:177]
	v_fma_f64 v[76:77], v[56:57], s[24:25], -v[156:157]
	v_add_f64_e32 v[66:67], v[72:73], v[66:67]
	v_add_f64_e32 v[72:73], v[96:97], v[50:51]
	;; [unrolled: 1-line block ×3, first 2 shown]
	v_fma_f64 v[78:79], v[56:57], s[14:15], -v[136:137]
	v_add_f64_e32 v[60:61], v[58:59], v[60:61]
	v_add_f64_e32 v[62:63], v[90:91], v[62:63]
	;; [unrolled: 1-line block ×6, first 2 shown]
	v_add_nc_u32_e32 v76, 0x2a0, v126
	v_mad_co_u64_u32 v[66:67], null, s8, v95, 0
	v_add_f64_e32 v[56:57], v[78:79], v[70:71]
	v_add_f64_e32 v[54:55], v[82:83], v[72:73]
	s_delay_alu instid0(VALU_DEP_4) | instskip(SKIP_2) | instid1(VALU_DEP_2)
	v_mad_co_u64_u32 v[70:71], null, s8, v76, 0
	v_add_nc_u32_e32 v96, 0x24c, v126
	v_add_f64_e32 v[60:61], v[92:93], v[60:61]
	v_mad_co_u64_u32 v[68:69], null, s8, v96, 0
	v_add_nc_u32_e32 v94, 0x1a4, v126
	s_delay_alu instid0(VALU_DEP_1) | instskip(NEXT) | instid1(VALU_DEP_1)
	v_mad_co_u64_u32 v[64:65], null, s8, v94, 0
	v_mad_co_u64_u32 v[72:73], null, s9, v94, v[65:66]
	s_delay_alu instid0(VALU_DEP_4) | instskip(SKIP_1) | instid1(VALU_DEP_2)
	v_mov_b32_e32 v65, v69
	v_mad_co_u64_u32 v[73:74], null, s9, v95, v[67:68]
	v_mad_co_u64_u32 v[74:75], null, s9, v96, v[65:66]
	v_mov_b32_e32 v65, v71
	v_add_nc_u32_e32 v71, 0x2f4, v126
	s_delay_alu instid0(VALU_DEP_4) | instskip(NEXT) | instid1(VALU_DEP_3)
	v_mov_b32_e32 v67, v73
	v_mad_co_u64_u32 v[75:76], null, s9, v76, v[65:66]
	s_delay_alu instid0(VALU_DEP_3) | instskip(SKIP_1) | instid1(VALU_DEP_4)
	v_mad_co_u64_u32 v[76:77], null, s8, v71, 0
	v_mov_b32_e32 v65, v72
	v_lshlrev_b64_e32 v[66:67], 4, v[66:67]
	s_delay_alu instid0(VALU_DEP_2) | instskip(NEXT) | instid1(VALU_DEP_4)
	v_lshlrev_b64_e32 v[64:65], 4, v[64:65]
	v_mov_b32_e32 v69, v77
	v_add_nc_u32_e32 v77, 0x348, v126
	s_delay_alu instid0(VALU_DEP_2) | instskip(SKIP_1) | instid1(VALU_DEP_3)
	v_mad_co_u64_u32 v[72:73], null, s9, v71, v[69:70]
	v_mov_b32_e32 v69, v74
	v_mad_co_u64_u32 v[73:74], null, s8, v77, 0
	v_mov_b32_e32 v71, v75
	v_add_co_u32 v64, vcc_lo, v80, v64
	s_delay_alu instid0(VALU_DEP_4)
	v_lshlrev_b64_e32 v[68:69], 4, v[68:69]
	s_wait_alu 0xfffd
	v_add_co_ci_u32_e32 v65, vcc_lo, v81, v65, vcc_lo
	v_mad_co_u64_u32 v[74:75], null, s9, v77, v[74:75]
	v_mov_b32_e32 v77, v72
	v_lshlrev_b64_e32 v[70:71], 4, v[70:71]
	v_add_co_u32 v66, vcc_lo, v80, v66
	s_wait_alu 0xfffd
	v_add_co_ci_u32_e32 v67, vcc_lo, v81, v67, vcc_lo
	v_lshlrev_b64_e32 v[75:76], 4, v[76:77]
	v_add_co_u32 v68, vcc_lo, v80, v68
	s_wait_alu 0xfffd
	v_add_co_ci_u32_e32 v69, vcc_lo, v81, v69, vcc_lo
	;; [unrolled: 4-line block ×3, first 2 shown]
	v_add_co_u32 v74, vcc_lo, v80, v75
	s_wait_alu 0xfffd
	v_add_co_ci_u32_e32 v75, vcc_lo, v81, v76, vcc_lo
	v_add_co_u32 v72, vcc_lo, v80, v72
	s_wait_alu 0xfffd
	v_add_co_ci_u32_e32 v73, vcc_lo, v81, v73, vcc_lo
	s_clause 0x5
	global_store_b128 v[64:65], v[44:47], off
	global_store_b128 v[66:67], v[40:43], off
	;; [unrolled: 1-line block ×6, first 2 shown]
	s_and_b32 exec_lo, exec_lo, s0
	s_cbranch_execz .LBB0_34
; %bb.33:
	v_subrev_nc_u32_e32 v40, 40, v126
	v_dual_mov_b32 v41, 0 :: v_dual_add_nc_u32 v114, 44, v126
	v_add_nc_u32_e32 v133, 0x224, v126
	v_add_nc_u32_e32 v135, 0x2cc, v126
	s_delay_alu instid0(VALU_DEP_4) | instskip(SKIP_3) | instid1(VALU_DEP_4)
	v_cndmask_b32_e64 v40, v40, v127, s0
	v_add_nc_u32_e32 v137, 0x374, v126
	v_or_b32_e32 v116, 0x80, v126
	v_mad_co_u64_u32 v[100:101], null, s8, v133, 0
	v_mul_i32_i24_e32 v40, 10, v40
	v_mad_co_u64_u32 v[104:105], null, s8, v135, 0
	v_mad_co_u64_u32 v[108:109], null, s8, v137, 0
	s_delay_alu instid0(VALU_DEP_3)
	v_lshlrev_b64_e32 v[40:41], 4, v[40:41]
	v_add_nc_u32_e32 v132, 0x1d0, v126
	v_add_nc_u32_e32 v136, 0x320, v126
	;; [unrolled: 1-line block ×3, first 2 shown]
	v_mad_co_u64_u32 v[88:89], null, s8, v114, 0
	v_add_co_u32 v44, vcc_lo, s4, v40
	s_wait_alu 0xfffd
	v_add_co_ci_u32_e32 v45, vcc_lo, s5, v41, vcc_lo
	v_mad_co_u64_u32 v[90:91], null, s8, v116, 0
	s_mov_b32 s1, 0x3fe82f19
	s_clause 0x9
	global_load_b128 v[76:79], v[44:45], off offset:1312
	global_load_b128 v[40:43], v[44:45], off offset:1456
	;; [unrolled: 1-line block ×10, first 2 shown]
	s_mov_b32 s0, s22
	v_mad_co_u64_u32 v[114:115], null, s9, v114, v[89:90]
	s_delay_alu instid0(VALU_DEP_1)
	v_mov_b32_e32 v89, v114
	s_wait_loadcnt 0x9
	v_mul_f64_e32 v[82:83], v[36:37], v[78:79]
	v_mul_f64_e32 v[78:79], v[20:21], v[78:79]
	s_wait_loadcnt 0x7
	v_mul_f64_e32 v[112:113], v[38:39], v[74:75]
	v_mul_f64_e32 v[74:75], v[22:23], v[74:75]
	v_mul_f64_e32 v[110:111], v[2:3], v[42:43]
	s_wait_loadcnt 0x4
	v_mul_f64_e32 v[119:120], v[18:19], v[62:63]
	;; [unrolled: 4-line block ×3, first 2 shown]
	s_wait_loadcnt 0x0
	v_mul_f64_e32 v[128:129], v[30:31], v[46:47]
	v_mul_f64_e32 v[46:47], v[14:15], v[46:47]
	;; [unrolled: 1-line block ×3, first 2 shown]
	v_fma_f64 v[20:21], v[20:21], v[76:77], v[82:83]
	v_fma_f64 v[36:37], v[36:37], v[76:77], -v[78:79]
	v_mov_b32_e32 v77, v101
	v_mov_b32_e32 v79, v105
	v_mad_co_u64_u32 v[98:99], null, s8, v132, 0
	v_mov_b32_e32 v101, v109
	v_mad_co_u64_u32 v[106:107], null, s8, v136, 0
	v_add_nc_u32_e32 v134, 0x278, v126
	v_add_nc_u32_e32 v117, 0xd4, v126
	v_mad_co_u64_u32 v[96:97], null, s8, v130, 0
	v_mov_b32_e32 v76, v99
	v_fma_f64 v[22:23], v[22:23], v[72:73], v[112:113]
	v_mov_b32_e32 v99, v107
	v_mad_co_u64_u32 v[102:103], null, s8, v134, 0
	v_add_nc_u32_e32 v121, 0x128, v126
	v_mad_co_u64_u32 v[92:93], null, s8, v117, 0
	v_mul_f64_e32 v[126:127], v[28:29], v[50:51]
	v_fma_f64 v[38:39], v[38:39], v[72:73], -v[74:75]
	v_mul_f64_e32 v[82:83], v[0:1], v[66:67]
	v_mov_b32_e32 v78, v103
	v_mad_co_u64_u32 v[94:95], null, s8, v121, 0
	v_mad_co_u64_u32 v[115:116], null, s9, v116, v[91:92]
	v_fma_f64 v[110:111], v[6:7], v[40:41], -v[110:111]
	v_mad_co_u64_u32 v[6:7], null, s9, v132, v[76:77]
	v_mul_f64_e32 v[50:51], v[12:13], v[50:51]
	v_mad_co_u64_u32 v[116:117], null, s9, v117, v[93:94]
	v_mad_co_u64_u32 v[121:122], null, s9, v121, v[95:96]
	v_mul_f64_e32 v[117:118], v[8:9], v[70:71]
	v_mul_f64_e32 v[70:71], v[24:25], v[70:71]
	;; [unrolled: 1-line block ×3, first 2 shown]
	v_add_f64_e32 v[72:73], v[84:85], v[20:21]
	v_add_f64_e32 v[74:75], v[86:87], v[36:37]
	v_mul_f64_e32 v[58:59], v[10:11], v[58:59]
	v_fma_f64 v[34:35], v[34:35], v[60:61], -v[119:120]
	v_fma_f64 v[40:41], v[2:3], v[40:41], v[42:43]
	v_fma_f64 v[30:31], v[30:31], v[44:45], -v[46:47]
	v_mad_co_u64_u32 v[76:77], null, s9, v133, v[77:78]
	v_mad_co_u64_u32 v[77:78], null, s9, v134, v[78:79]
	v_mul_f64_e32 v[66:67], v[4:5], v[66:67]
	v_mad_co_u64_u32 v[78:79], null, s9, v135, v[79:80]
	v_fma_f64 v[16:17], v[16:17], v[52:53], v[124:125]
	v_mad_co_u64_u32 v[112:113], null, s9, v137, v[101:102]
	v_mov_b32_e32 v95, v121
	v_mov_b32_e32 v91, v115
	v_lshlrev_b64_e32 v[46:47], 4, v[88:89]
	v_mov_b32_e32 v105, v78
	v_mov_b32_e32 v93, v116
	v_fma_f64 v[4:5], v[4:5], v[64:65], -v[82:83]
	v_mad_co_u64_u32 v[82:83], null, s9, v136, v[99:100]
	v_mov_b32_e32 v109, v112
	v_mov_b32_e32 v99, v6
	v_mad_co_u64_u32 v[130:131], null, s9, v130, v[97:98]
	v_mov_b32_e32 v101, v76
	v_mov_b32_e32 v103, v77
	;; [unrolled: 1-line block ×3, first 2 shown]
	v_fma_f64 v[28:29], v[28:29], v[48:49], -v[50:51]
	v_lshlrev_b64_e32 v[50:51], 4, v[92:93]
	v_add_co_u32 v46, vcc_lo, v80, v46
	v_fma_f64 v[24:25], v[24:25], v[68:69], -v[117:118]
	v_fma_f64 v[2:3], v[8:9], v[68:69], v[70:71]
	v_fma_f64 v[7:8], v[10:11], v[56:57], v[122:123]
	;; [unrolled: 1-line block ×5, first 2 shown]
	v_add_f64_e32 v[42:43], v[72:73], v[22:23]
	v_add_f64_e32 v[44:45], v[74:75], v[38:39]
	v_fma_f64 v[18:19], v[26:27], v[56:57], -v[58:59]
	v_fma_f64 v[26:27], v[32:33], v[52:53], -v[54:55]
	v_add_f64_e64 v[32:33], v[36:37], -v[110:111]
	v_add_f64_e32 v[36:37], v[36:37], v[110:111]
	v_lshlrev_b64_e32 v[54:55], 4, v[94:95]
	v_fma_f64 v[0:1], v[0:1], v[64:65], v[66:67]
	v_lshlrev_b64_e32 v[64:65], 4, v[104:105]
	v_lshlrev_b64_e32 v[66:67], 4, v[106:107]
	;; [unrolled: 1-line block ×3, first 2 shown]
	v_add_f64_e32 v[74:75], v[20:21], v[40:41]
	v_add_f64_e64 v[20:21], v[20:21], -v[40:41]
	v_mov_b32_e32 v97, v130
	v_lshlrev_b64_e32 v[48:49], 4, v[90:91]
	v_lshlrev_b64_e32 v[58:59], 4, v[98:99]
	;; [unrolled: 1-line block ×4, first 2 shown]
	v_add_f64_e64 v[52:53], v[38:39], -v[4:5]
	v_add_f64_e32 v[38:39], v[38:39], v[4:5]
	v_lshlrev_b64_e32 v[56:57], 4, v[96:97]
	s_wait_alu 0xfffd
	v_add_co_ci_u32_e32 v47, vcc_lo, v81, v47, vcc_lo
	v_add_co_u32 v48, vcc_lo, v80, v48
	s_wait_alu 0xfffd
	v_add_co_ci_u32_e32 v49, vcc_lo, v81, v49, vcc_lo
	v_add_co_u32 v50, vcc_lo, v80, v50
	v_add_f64_e32 v[98:99], v[28:29], v[30:31]
	v_add_f64_e64 v[102:103], v[28:29], -v[30:31]
	s_wait_alu 0xfffd
	v_add_co_ci_u32_e32 v51, vcc_lo, v81, v51, vcc_lo
	v_add_f64_e64 v[70:71], v[24:25], -v[34:35]
	v_add_f64_e32 v[72:73], v[24:25], v[34:35]
	v_add_f64_e32 v[78:79], v[2:3], v[9:10]
	v_add_f64_e64 v[82:83], v[2:3], -v[9:10]
	v_add_f64_e32 v[88:89], v[7:8], v[16:17]
	v_add_f64_e32 v[2:3], v[42:43], v[2:3]
	;; [unrolled: 1-line block ×3, first 2 shown]
	v_add_f64_e64 v[94:95], v[7:8], -v[16:17]
	v_add_f64_e32 v[90:91], v[18:19], v[26:27]
	v_mul_f64_e32 v[104:105], s[16:17], v[32:33]
	v_mul_f64_e32 v[106:107], s[14:15], v[36:37]
	;; [unrolled: 1-line block ×10, first 2 shown]
	v_add_f64_e32 v[76:77], v[22:23], v[0:1]
	v_add_f64_e64 v[22:23], v[22:23], -v[0:1]
	v_add_f64_e64 v[92:93], v[18:19], -v[26:27]
	v_add_f64_e32 v[96:97], v[11:12], v[13:14]
	v_mul_f64_e32 v[118:119], s[10:11], v[52:53]
	v_mul_f64_e32 v[120:121], s[6:7], v[38:39]
	;; [unrolled: 1-line block ×10, first 2 shown]
	v_add_f64_e64 v[100:101], v[11:12], -v[13:14]
	v_mul_f64_e32 v[168:169], s[14:15], v[98:99]
	v_mul_f64_e32 v[166:167], s[26:27], v[102:103]
	;; [unrolled: 1-line block ×9, first 2 shown]
	v_add_f64_e32 v[2:3], v[2:3], v[7:8]
	v_add_f64_e32 v[6:7], v[24:25], v[18:19]
	v_mul_f64_e32 v[144:145], s[6:7], v[72:73]
	v_mul_f64_e32 v[146:147], s[16:17], v[70:71]
	v_fma_f64 v[178:179], v[74:75], s[14:15], v[104:105]
	v_fma_f64 v[180:181], v[20:21], s[12:13], v[106:107]
	v_fma_f64 v[104:105], v[74:75], s[14:15], -v[104:105]
	v_fma_f64 v[106:107], v[20:21], s[16:17], v[106:107]
	v_fma_f64 v[182:183], v[74:75], s[6:7], v[108:109]
	;; [unrolled: 1-line block ×4, first 2 shown]
	v_fma_f64 v[108:109], v[74:75], s[6:7], -v[108:109]
	v_fma_f64 v[188:189], v[20:21], s[28:29], v[42:43]
	v_fma_f64 v[114:115], v[74:75], s[20:21], -v[114:115]
	v_fma_f64 v[190:191], v[74:75], s[24:25], v[44:45]
	s_wait_alu 0xfffe
	v_fma_f64 v[192:193], v[20:21], s[0:1], v[116:117]
	v_fma_f64 v[44:45], v[74:75], s[24:25], -v[44:45]
	v_fma_f64 v[194:195], v[74:75], s[30:31], v[32:33]
	v_fma_f64 v[196:197], v[20:21], s[34:35], v[36:37]
	;; [unrolled: 1-line block ×5, first 2 shown]
	v_fma_f64 v[32:33], v[74:75], s[30:31], -v[32:33]
	v_fma_f64 v[20:21], v[20:21], s[26:27], v[36:37]
	v_fma_f64 v[36:37], v[76:77], s[6:7], v[118:119]
	;; [unrolled: 1-line block ×3, first 2 shown]
	v_fma_f64 v[118:119], v[76:77], s[6:7], -v[118:119]
	v_fma_f64 v[120:121], v[22:23], s[10:11], v[120:121]
	v_fma_f64 v[198:199], v[76:77], s[24:25], v[122:123]
	;; [unrolled: 1-line block ×3, first 2 shown]
	v_fma_f64 v[122:123], v[76:77], s[24:25], -v[122:123]
	v_mul_f64_e32 v[148:149], s[14:15], v[72:73]
	v_fma_f64 v[202:203], v[76:77], s[20:21], v[130:131]
	v_fma_f64 v[204:205], v[22:23], s[18:19], v[132:133]
	v_mul_f64_e32 v[70:71], s[22:23], v[70:71]
	v_mul_f64_e32 v[72:73], s[24:25], v[72:73]
	v_fma_f64 v[130:131], v[76:77], s[20:21], -v[130:131]
	v_fma_f64 v[206:207], v[76:77], s[14:15], v[52:53]
	v_add_f64_e32 v[2:3], v[2:3], v[11:12]
	v_add_f64_e32 v[6:7], v[6:7], v[28:29]
	v_fma_f64 v[28:29], v[76:77], s[30:31], v[126:127]
	v_fma_f64 v[11:12], v[22:23], s[22:23], v[124:125]
	v_add_f64_e32 v[178:179], v[84:85], v[178:179]
	v_add_f64_e32 v[180:181], v[86:87], v[180:181]
	;; [unrolled: 1-line block ×7, first 2 shown]
	v_fma_f64 v[124:125], v[22:23], s[26:27], v[128:129]
	v_add_f64_e32 v[108:109], v[84:85], v[108:109]
	v_add_f64_e32 v[188:189], v[86:87], v[188:189]
	v_fma_f64 v[126:127], v[76:77], s[30:31], -v[126:127]
	v_add_f64_e32 v[114:115], v[84:85], v[114:115]
	v_add_f64_e32 v[190:191], v[84:85], v[190:191]
	v_fma_f64 v[208:209], v[22:23], s[16:17], v[38:39]
	v_fma_f64 v[128:129], v[22:23], s[34:35], v[128:129]
	;; [unrolled: 1-line block ×3, first 2 shown]
	v_fma_f64 v[52:53], v[76:77], s[14:15], -v[52:53]
	v_fma_f64 v[22:23], v[22:23], s[12:13], v[38:39]
	v_add_f64_e32 v[32:33], v[84:85], v[32:33]
	v_add_f64_e32 v[20:21], v[86:87], v[20:21]
	;; [unrolled: 1-line block ×3, first 2 shown]
	v_mul_f64_e32 v[150:151], s[22:23], v[92:93]
	v_mul_f64_e32 v[152:153], s[24:25], v[90:91]
	;; [unrolled: 1-line block ×4, first 2 shown]
	v_fma_f64 v[38:39], v[78:79], s[20:21], v[134:135]
	v_fma_f64 v[76:77], v[82:83], s[28:29], v[136:137]
	v_fma_f64 v[134:135], v[78:79], s[20:21], -v[134:135]
	v_fma_f64 v[136:137], v[82:83], s[18:19], v[136:137]
	v_fma_f64 v[210:211], v[78:79], s[30:31], v[138:139]
	;; [unrolled: 1-line block ×3, first 2 shown]
	v_mul_f64_e32 v[156:157], s[20:21], v[90:91]
	v_fma_f64 v[212:213], v[82:83], s[26:27], v[140:141]
	v_mul_f64_e32 v[160:161], s[14:15], v[90:91]
	v_add_f64_e32 v[2:3], v[2:3], v[13:14]
	v_add_f64_e32 v[6:7], v[6:7], v[30:31]
	;; [unrolled: 1-line block ×15, first 2 shown]
	v_fma_f64 v[216:217], v[82:83], s[10:11], v[144:145]
	v_add_f64_e32 v[108:109], v[122:123], v[108:109]
	v_add_f64_e32 v[122:123], v[124:125], v[188:189]
	v_mul_f64_e32 v[162:163], s[26:27], v[92:93]
	v_mul_f64_e32 v[164:165], s[30:31], v[90:91]
	v_fma_f64 v[138:139], v[78:79], s[30:31], -v[138:139]
	v_fma_f64 v[142:143], v[78:79], s[6:7], -v[142:143]
	v_fma_f64 v[112:113], v[78:79], s[14:15], v[146:147]
	v_fma_f64 v[116:117], v[82:83], s[12:13], v[148:149]
	v_add_f64_e32 v[114:115], v[126:127], v[114:115]
	v_add_f64_e32 v[124:125], v[202:203], v[190:191]
	v_mul_f64_e32 v[92:93], s[2:3], v[92:93]
	v_mul_f64_e32 v[90:91], s[6:7], v[90:91]
	v_fma_f64 v[146:147], v[78:79], s[14:15], -v[146:147]
	v_fma_f64 v[194:195], v[78:79], s[24:25], v[70:71]
	v_fma_f64 v[196:197], v[82:83], s[0:1], v[72:73]
	v_mul_f64_e32 v[18:19], s[30:31], v[98:99]
	v_fma_f64 v[70:71], v[78:79], s[24:25], -v[70:71]
	v_fma_f64 v[72:73], v[82:83], s[22:23], v[72:73]
	v_add_f64_e32 v[32:33], v[52:53], v[32:33]
	v_add_f64_e32 v[20:21], v[22:23], v[20:21]
	v_fma_f64 v[148:149], v[82:83], s[16:17], v[148:149]
	v_fma_f64 v[144:145], v[82:83], s[2:3], v[144:145]
	v_add_f64_e32 v[2:3], v[2:3], v[16:17]
	v_add_f64_e32 v[6:7], v[6:7], v[26:27]
	;; [unrolled: 1-line block ×8, first 2 shown]
	v_fma_f64 v[140:141], v[82:83], s[34:35], v[140:141]
	v_add_f64_e32 v[11:12], v[11:12], v[86:87]
	v_mul_f64_e32 v[24:25], s[12:13], v[102:103]
	v_mul_f64_e32 v[102:103], s[18:19], v[102:103]
	v_fma_f64 v[78:79], v[88:89], s[24:25], v[150:151]
	v_fma_f64 v[82:83], v[94:95], s[0:1], v[152:153]
	;; [unrolled: 1-line block ×5, first 2 shown]
	v_add_f64_e32 v[36:37], v[38:39], v[36:37]
	v_add_f64_e32 v[38:39], v[76:77], v[74:75]
	;; [unrolled: 1-line block ×6, first 2 shown]
	v_fma_f64 v[220:221], v[94:95], s[18:19], v[156:157]
	v_add_f64_e32 v[106:107], v[212:213], v[120:121]
	v_mul_f64_e32 v[172:173], s[24:25], v[98:99]
	v_fma_f64 v[52:53], v[94:95], s[12:13], v[160:161]
	v_add_f64_e32 v[118:119], v[216:217], v[122:123]
	v_mul_f64_e32 v[176:177], s[6:7], v[98:99]
	v_mul_f64_e32 v[98:99], s[20:21], v[98:99]
	v_fma_f64 v[154:155], v[88:89], s[20:21], -v[154:155]
	v_fma_f64 v[84:85], v[88:89], s[14:15], -v[158:159]
	v_fma_f64 v[126:127], v[88:89], s[30:31], v[162:163]
	v_fma_f64 v[128:129], v[94:95], s[34:35], v[164:165]
	v_add_f64_e32 v[108:109], v[138:139], v[108:109]
	v_add_f64_e32 v[114:115], v[142:143], v[114:115]
	;; [unrolled: 1-line block ×3, first 2 shown]
	v_fma_f64 v[86:87], v[94:95], s[16:17], v[160:161]
	v_add_f64_e32 v[2:3], v[2:3], v[9:10]
	v_add_f64_e32 v[6:7], v[6:7], v[34:35]
	;; [unrolled: 1-line block ×3, first 2 shown]
	v_fma_f64 v[130:131], v[88:89], s[30:31], -v[162:163]
	v_fma_f64 v[158:159], v[88:89], s[6:7], v[92:93]
	v_fma_f64 v[160:161], v[94:95], s[10:11], v[90:91]
	v_add_f64_e32 v[13:14], v[146:147], v[15:16]
	v_add_f64_e32 v[15:16], v[194:195], v[26:27]
	;; [unrolled: 1-line block ×3, first 2 shown]
	v_fma_f64 v[150:151], v[88:89], s[24:25], -v[150:151]
	v_fma_f64 v[156:157], v[94:95], s[28:29], v[156:157]
	v_fma_f64 v[132:133], v[94:95], s[26:27], v[164:165]
	v_fma_f64 v[88:89], v[88:89], s[6:7], -v[92:93]
	v_fma_f64 v[90:91], v[94:95], s[2:3], v[90:91]
	v_fma_f64 v[94:95], v[100:101], s[34:35], v[18:19]
	;; [unrolled: 1-line block ×3, first 2 shown]
	v_add_f64_e32 v[30:31], v[70:71], v[32:33]
	v_add_f64_e32 v[19:20], v[72:73], v[20:21]
	;; [unrolled: 1-line block ×5, first 2 shown]
	v_fma_f64 v[92:93], v[96:97], s[30:31], v[166:167]
	v_fma_f64 v[162:163], v[96:97], s[30:31], -v[166:167]
	v_fma_f64 v[34:35], v[96:97], s[14:15], v[24:25]
	v_fma_f64 v[23:24], v[96:97], s[14:15], -v[24:25]
	;; [unrolled: 2-line block ×5, first 2 shown]
	v_add_f64_e32 v[36:37], v[78:79], v[36:37]
	v_add_f64_e32 v[76:77], v[152:153], v[76:77]
	;; [unrolled: 1-line block ×5, first 2 shown]
	v_fma_f64 v[42:43], v[100:101], s[16:17], v[168:169]
	v_add_f64_e32 v[82:83], v[220:221], v[106:107]
	v_add_f64_e32 v[102:103], v[2:3], v[0:1]
	;; [unrolled: 1-line block ×3, first 2 shown]
	v_fma_f64 v[116:117], v[100:101], s[0:1], v[172:173]
	v_add_f64_e32 v[44:45], v[52:53], v[118:119]
	v_fma_f64 v[70:71], v[100:101], s[12:13], v[168:169]
	v_fma_f64 v[122:123], v[100:101], s[22:23], v[172:173]
	;; [unrolled: 1-line block ×6, first 2 shown]
	v_add_f64_e32 v[100:101], v[154:155], v[108:109]
	v_add_f64_e32 v[52:53], v[84:85], v[114:115]
	;; [unrolled: 1-line block ×13, first 2 shown]
	v_add_co_u32 v54, vcc_lo, v80, v54
	s_wait_alu 0xfffd
	v_add_co_ci_u32_e32 v55, vcc_lo, v81, v55, vcc_lo
	v_add_f64_e32 v[0:1], v[92:93], v[36:37]
	v_add_f64_e32 v[6:7], v[17:18], v[76:77]
	;; [unrolled: 1-line block ×9, first 2 shown]
	v_add_co_u32 v44, vcc_lo, v80, v56
	s_wait_alu 0xfffd
	v_add_co_ci_u32_e32 v45, vcc_lo, v81, v57, vcc_lo
	v_add_f64_e32 v[12:13], v[23:24], v[100:101]
	v_add_f64_e32 v[20:21], v[120:121], v[52:53]
	;; [unrolled: 1-line block ×13, first 2 shown]
	v_add_co_u32 v52, vcc_lo, v80, v58
	s_wait_alu 0xfffd
	v_add_co_ci_u32_e32 v53, vcc_lo, v81, v59, vcc_lo
	v_add_co_u32 v56, vcc_lo, v80, v60
	s_wait_alu 0xfffd
	v_add_co_ci_u32_e32 v57, vcc_lo, v81, v61, vcc_lo
	;; [unrolled: 3-line block ×6, first 2 shown]
	s_clause 0xa
	global_store_b128 v[46:47], v[28:31], off
	global_store_b128 v[48:49], v[0:3], off
	global_store_b128 v[50:51], v[8:11], off
	global_store_b128 v[54:55], v[16:19], off
	global_store_b128 v[44:45], v[24:27], off
	global_store_b128 v[52:53], v[36:39], off
	global_store_b128 v[56:57], v[40:43], off
	global_store_b128 v[58:59], v[32:35], off
	global_store_b128 v[60:61], v[20:23], off
	global_store_b128 v[62:63], v[12:15], off
	global_store_b128 v[64:65], v[4:7], off
.LBB0_34:
	s_nop 0
	s_sendmsg sendmsg(MSG_DEALLOC_VGPRS)
	s_endpgm
	.section	.rodata,"a",@progbits
	.p2align	6, 0x0
	.amdhsa_kernel fft_rtc_back_len924_factors_2_2_3_7_11_wgs_44_tpt_44_halfLds_dp_ip_CI_sbrr_dirReg
		.amdhsa_group_segment_fixed_size 0
		.amdhsa_private_segment_fixed_size 0
		.amdhsa_kernarg_size 88
		.amdhsa_user_sgpr_count 2
		.amdhsa_user_sgpr_dispatch_ptr 0
		.amdhsa_user_sgpr_queue_ptr 0
		.amdhsa_user_sgpr_kernarg_segment_ptr 1
		.amdhsa_user_sgpr_dispatch_id 0
		.amdhsa_user_sgpr_private_segment_size 0
		.amdhsa_wavefront_size32 1
		.amdhsa_uses_dynamic_stack 0
		.amdhsa_enable_private_segment 0
		.amdhsa_system_sgpr_workgroup_id_x 1
		.amdhsa_system_sgpr_workgroup_id_y 0
		.amdhsa_system_sgpr_workgroup_id_z 0
		.amdhsa_system_sgpr_workgroup_info 0
		.amdhsa_system_vgpr_workitem_id 0
		.amdhsa_next_free_vgpr 222
		.amdhsa_next_free_sgpr 36
		.amdhsa_reserve_vcc 1
		.amdhsa_float_round_mode_32 0
		.amdhsa_float_round_mode_16_64 0
		.amdhsa_float_denorm_mode_32 3
		.amdhsa_float_denorm_mode_16_64 3
		.amdhsa_fp16_overflow 0
		.amdhsa_workgroup_processor_mode 1
		.amdhsa_memory_ordered 1
		.amdhsa_forward_progress 0
		.amdhsa_round_robin_scheduling 0
		.amdhsa_exception_fp_ieee_invalid_op 0
		.amdhsa_exception_fp_denorm_src 0
		.amdhsa_exception_fp_ieee_div_zero 0
		.amdhsa_exception_fp_ieee_overflow 0
		.amdhsa_exception_fp_ieee_underflow 0
		.amdhsa_exception_fp_ieee_inexact 0
		.amdhsa_exception_int_div_zero 0
	.end_amdhsa_kernel
	.text
.Lfunc_end0:
	.size	fft_rtc_back_len924_factors_2_2_3_7_11_wgs_44_tpt_44_halfLds_dp_ip_CI_sbrr_dirReg, .Lfunc_end0-fft_rtc_back_len924_factors_2_2_3_7_11_wgs_44_tpt_44_halfLds_dp_ip_CI_sbrr_dirReg
                                        ; -- End function
	.section	.AMDGPU.csdata,"",@progbits
; Kernel info:
; codeLenInByte = 16920
; NumSgprs: 38
; NumVgprs: 222
; ScratchSize: 0
; MemoryBound: 1
; FloatMode: 240
; IeeeMode: 1
; LDSByteSize: 0 bytes/workgroup (compile time only)
; SGPRBlocks: 4
; VGPRBlocks: 27
; NumSGPRsForWavesPerEU: 38
; NumVGPRsForWavesPerEU: 222
; Occupancy: 6
; WaveLimiterHint : 1
; COMPUTE_PGM_RSRC2:SCRATCH_EN: 0
; COMPUTE_PGM_RSRC2:USER_SGPR: 2
; COMPUTE_PGM_RSRC2:TRAP_HANDLER: 0
; COMPUTE_PGM_RSRC2:TGID_X_EN: 1
; COMPUTE_PGM_RSRC2:TGID_Y_EN: 0
; COMPUTE_PGM_RSRC2:TGID_Z_EN: 0
; COMPUTE_PGM_RSRC2:TIDIG_COMP_CNT: 0
	.text
	.p2alignl 7, 3214868480
	.fill 96, 4, 3214868480
	.type	__hip_cuid_bf74f764c37c2760,@object ; @__hip_cuid_bf74f764c37c2760
	.section	.bss,"aw",@nobits
	.globl	__hip_cuid_bf74f764c37c2760
__hip_cuid_bf74f764c37c2760:
	.byte	0                               ; 0x0
	.size	__hip_cuid_bf74f764c37c2760, 1

	.ident	"AMD clang version 19.0.0git (https://github.com/RadeonOpenCompute/llvm-project roc-6.4.0 25133 c7fe45cf4b819c5991fe208aaa96edf142730f1d)"
	.section	".note.GNU-stack","",@progbits
	.addrsig
	.addrsig_sym __hip_cuid_bf74f764c37c2760
	.amdgpu_metadata
---
amdhsa.kernels:
  - .args:
      - .actual_access:  read_only
        .address_space:  global
        .offset:         0
        .size:           8
        .value_kind:     global_buffer
      - .offset:         8
        .size:           8
        .value_kind:     by_value
      - .actual_access:  read_only
        .address_space:  global
        .offset:         16
        .size:           8
        .value_kind:     global_buffer
      - .actual_access:  read_only
        .address_space:  global
        .offset:         24
        .size:           8
        .value_kind:     global_buffer
      - .offset:         32
        .size:           8
        .value_kind:     by_value
      - .actual_access:  read_only
        .address_space:  global
        .offset:         40
        .size:           8
        .value_kind:     global_buffer
      - .actual_access:  read_only
        .address_space:  global
        .offset:         48
        .size:           8
        .value_kind:     global_buffer
      - .offset:         56
        .size:           4
        .value_kind:     by_value
      - .actual_access:  read_only
        .address_space:  global
        .offset:         64
        .size:           8
        .value_kind:     global_buffer
      - .actual_access:  read_only
        .address_space:  global
        .offset:         72
        .size:           8
        .value_kind:     global_buffer
      - .address_space:  global
        .offset:         80
        .size:           8
        .value_kind:     global_buffer
    .group_segment_fixed_size: 0
    .kernarg_segment_align: 8
    .kernarg_segment_size: 88
    .language:       OpenCL C
    .language_version:
      - 2
      - 0
    .max_flat_workgroup_size: 44
    .name:           fft_rtc_back_len924_factors_2_2_3_7_11_wgs_44_tpt_44_halfLds_dp_ip_CI_sbrr_dirReg
    .private_segment_fixed_size: 0
    .sgpr_count:     38
    .sgpr_spill_count: 0
    .symbol:         fft_rtc_back_len924_factors_2_2_3_7_11_wgs_44_tpt_44_halfLds_dp_ip_CI_sbrr_dirReg.kd
    .uniform_work_group_size: 1
    .uses_dynamic_stack: false
    .vgpr_count:     222
    .vgpr_spill_count: 0
    .wavefront_size: 32
    .workgroup_processor_mode: 1
amdhsa.target:   amdgcn-amd-amdhsa--gfx1201
amdhsa.version:
  - 1
  - 2
...

	.end_amdgpu_metadata
